;; amdgpu-corpus repo=ROCm/rocFFT kind=compiled arch=gfx950 opt=O3
	.text
	.amdgcn_target "amdgcn-amd-amdhsa--gfx950"
	.amdhsa_code_object_version 6
	.protected	bluestein_single_fwd_len1296_dim1_dp_op_CI_CI ; -- Begin function bluestein_single_fwd_len1296_dim1_dp_op_CI_CI
	.globl	bluestein_single_fwd_len1296_dim1_dp_op_CI_CI
	.p2align	8
	.type	bluestein_single_fwd_len1296_dim1_dp_op_CI_CI,@function
bluestein_single_fwd_len1296_dim1_dp_op_CI_CI: ; @bluestein_single_fwd_len1296_dim1_dp_op_CI_CI
; %bb.0:
	s_load_dwordx4 s[16:19], s[0:1], 0x28
	v_mul_u32_u24_e32 v1, 0x25f, v0
	v_add_u32_sdwa v200, s2, v1 dst_sel:DWORD dst_unused:UNUSED_PAD src0_sel:DWORD src1_sel:WORD_1
	v_mov_b32_e32 v201, 0
	s_waitcnt lgkmcnt(0)
	v_cmp_gt_u64_e32 vcc, s[16:17], v[200:201]
	s_and_saveexec_b64 s[2:3], vcc
	s_cbranch_execz .LBB0_2
; %bb.1:
	s_load_dwordx4 s[12:15], s[0:1], 0x18
	s_load_dwordx4 s[8:11], s[0:1], 0x0
	v_mov_b32_e32 v2, s18
	v_mov_b32_e32 v3, s19
	s_load_dwordx2 s[0:1], s[0:1], 0x38
	s_waitcnt lgkmcnt(0)
	v_mov_b64_e32 v[136:137], s[10:11]
	s_load_dwordx4 s[4:7], s[14:15], 0x0
	s_waitcnt lgkmcnt(0)
	v_mad_u64_u32 v[202:203], s[2:3], s6, v200, 0
	s_load_dwordx4 s[12:15], s[12:13], 0x0
	v_mov_b32_e32 v6, v203
	v_mad_u64_u32 v[206:207], s[2:3], s7, v200, v[6:7]
	v_mov_b32_e32 v207, 0xffffc340
	s_waitcnt lgkmcnt(0)
	v_mad_u64_u32 v[4:5], s[2:3], s14, v200, 0
	v_mov_b32_e32 v6, v5
	v_mad_u64_u32 v[6:7], s[2:3], s15, v200, v[6:7]
	s_movk_i32 s2, 0x6c
	s_nop 0
	v_mul_lo_u16_sdwa v1, v1, s2 dst_sel:DWORD dst_unused:UNUSED_PAD src0_sel:WORD_1 src1_sel:DWORD
	v_sub_u16_e32 v204, v0, v1
	v_mad_u64_u32 v[0:1], s[2:3], s12, v204, 0
	v_mov_b32_e32 v5, v6
	v_mov_b32_e32 v6, v1
	v_mad_u64_u32 v[6:7], s[2:3], s13, v204, v[6:7]
	v_mov_b32_e32 v1, v6
	v_lshl_add_u64 v[2:3], v[4:5], 4, v[2:3]
	v_lshlrev_b32_e32 v200, 4, v204
	v_lshl_add_u64 v[0:1], v[0:1], 4, v[2:3]
	v_lshl_add_u64 v[188:189], s[8:9], 0, v[200:201]
	v_mov_b32_e32 v201, 0xd80
	global_load_dwordx4 v[48:51], v[0:1], off
	v_mad_u64_u32 v[0:1], s[2:3], s12, v201, v[0:1]
	global_load_dwordx4 v[24:27], v200, s[8:9]
	s_mul_i32 s2, s13, 0xd80
	v_add_u32_e32 v1, s2, v1
	s_movk_i32 s3, 0x1000
	global_load_dwordx4 v[52:55], v[0:1], off
	global_load_dwordx4 v[28:31], v200, s[8:9] offset:3456
	v_mad_u64_u32 v[0:1], s[6:7], s12, v201, v[0:1]
	v_add_co_u32_e32 v2, vcc, s3, v188
	v_add_u32_e32 v1, s2, v1
	s_nop 0
	v_addc_co_u32_e32 v3, vcc, 0, v189, vcc
	s_movk_i32 s3, 0x2000
	global_load_dwordx4 v[56:59], v[0:1], off
	global_load_dwordx4 v[32:35], v[2:3], off offset:2816
	v_mad_u64_u32 v[0:1], s[6:7], s12, v201, v[0:1]
	v_add_co_u32_e32 v4, vcc, s3, v188
	v_add_u32_e32 v1, s2, v1
	s_nop 0
	v_addc_co_u32_e32 v5, vcc, 0, v189, vcc
	global_load_dwordx4 v[36:39], v[4:5], off offset:2176
	s_movk_i32 s3, 0x3000
	global_load_dwordx4 v[60:63], v[0:1], off
	v_mad_u64_u32 v[0:1], s[6:7], s12, v201, v[0:1]
	v_add_co_u32_e32 v92, vcc, s3, v188
	v_add_u32_e32 v1, s2, v1
	s_nop 0
	v_addc_co_u32_e32 v93, vcc, 0, v189, vcc
	s_movk_i32 s3, 0x4000
	global_load_dwordx4 v[64:67], v[0:1], off
	global_load_dwordx4 v[40:43], v[92:93], off offset:1536
	v_mad_u64_u32 v[0:1], s[6:7], s12, v201, v[0:1]
	v_add_co_u32_e32 v96, vcc, s3, v188
	v_add_u32_e32 v1, s2, v1
	s_nop 0
	v_addc_co_u32_e32 v97, vcc, 0, v189, vcc
	global_load_dwordx4 v[44:47], v[96:97], off offset:896
	s_mul_i32 s3, s13, 0xffffc340
	global_load_dwordx4 v[68:71], v[0:1], off
	v_mad_u64_u32 v[0:1], s[6:7], s12, v207, v[0:1]
	s_sub_i32 s3, s3, s12
	v_add_u32_e32 v1, s3, v1
	global_load_dwordx4 v[72:75], v[0:1], off
	global_load_dwordx4 v[20:23], v200, s[8:9] offset:1728
	v_mad_u64_u32 v[0:1], s[6:7], s12, v201, v[0:1]
	v_add_u32_e32 v1, s2, v1
	global_load_dwordx4 v[76:79], v[0:1], off
	global_load_dwordx4 v[16:19], v[2:3], off offset:1088
	v_mad_u64_u32 v[0:1], s[6:7], s12, v201, v[0:1]
	v_add_u32_e32 v1, s2, v1
	global_load_dwordx4 v[80:83], v[0:1], off
	global_load_dwordx4 v[12:15], v[4:5], off offset:448
	;; [unrolled: 4-line block ×5, first 2 shown]
	s_mov_b32 s2, 0
	v_mov_b32_e32 v205, s2
	s_mov_b64 s[2:3], 0x6c
	v_lshl_add_u64 v[108:109], v[204:205], 0, s[2:3]
	s_mov_b32 s2, 0xe8584caa
	s_mov_b32 s3, 0x3febb67a
	;; [unrolled: 1-line block ×4, first 2 shown]
	s_movk_i32 s9, 0xab
	s_movk_i32 s8, 0x50
	s_waitcnt vmcnt(22)
	v_mul_f64 v[96:97], v[50:51], v[26:27]
	v_fmac_f64_e32 v[96:97], v[48:49], v[24:25]
	v_mul_f64 v[48:49], v[48:49], v[26:27]
	v_fma_f64 v[98:99], v[50:51], v[24:25], -v[48:49]
	s_waitcnt vmcnt(20)
	v_mul_f64 v[48:49], v[54:55], v[30:31]
	v_mul_f64 v[50:51], v[52:53], v[30:31]
	v_fmac_f64_e32 v[48:49], v[52:53], v[28:29]
	v_fma_f64 v[50:51], v[54:55], v[28:29], -v[50:51]
	ds_write_b128 v200, v[48:51] offset:3456
	ds_write_b128 v200, v[96:99]
	s_waitcnt vmcnt(18)
	v_mul_f64 v[48:49], v[58:59], v[34:35]
	v_mul_f64 v[50:51], v[56:57], v[34:35]
	v_fmac_f64_e32 v[48:49], v[56:57], v[32:33]
	v_fma_f64 v[50:51], v[58:59], v[32:33], -v[50:51]
	ds_write_b128 v200, v[48:51] offset:6912
	s_waitcnt vmcnt(16)
	v_mul_f64 v[48:49], v[62:63], v[38:39]
	v_mul_f64 v[50:51], v[60:61], v[38:39]
	v_fmac_f64_e32 v[48:49], v[60:61], v[36:37]
	v_fma_f64 v[50:51], v[62:63], v[36:37], -v[50:51]
	ds_write_b128 v200, v[48:51] offset:10368
	;; [unrolled: 6-line block ×10, first 2 shown]
	s_waitcnt lgkmcnt(0)
	s_barrier
	ds_read_b128 v[52:55], v200
	ds_read_b128 v[56:59], v200 offset:3456
	ds_read_b128 v[60:63], v200 offset:6912
	;; [unrolled: 1-line block ×11, first 2 shown]
	s_waitcnt lgkmcnt(7)
	v_add_f64 v[98:99], v[60:61], v[68:69]
	v_add_f64 v[96:97], v[52:53], v[60:61]
	v_fmac_f64_e32 v[52:53], -0.5, v[98:99]
	v_add_f64 v[98:99], v[62:63], -v[70:71]
	v_fma_f64 v[100:101], s[2:3], v[98:99], v[52:53]
	v_fmac_f64_e32 v[52:53], s[6:7], v[98:99]
	v_add_f64 v[98:99], v[54:55], v[62:63]
	v_add_f64 v[62:63], v[62:63], v[70:71]
	v_fmac_f64_e32 v[54:55], -0.5, v[62:63]
	v_add_f64 v[60:61], v[60:61], -v[68:69]
	v_fma_f64 v[102:103], s[6:7], v[60:61], v[54:55]
	v_fmac_f64_e32 v[54:55], s[2:3], v[60:61]
	v_add_f64 v[60:61], v[56:57], v[64:65]
	s_waitcnt lgkmcnt(6)
	v_add_f64 v[104:105], v[60:61], v[72:73]
	v_add_f64 v[60:61], v[64:65], v[72:73]
	v_fmac_f64_e32 v[56:57], -0.5, v[60:61]
	v_add_f64 v[60:61], v[66:67], -v[74:75]
	v_add_f64 v[98:99], v[98:99], v[70:71]
	v_fma_f64 v[70:71], s[2:3], v[60:61], v[56:57]
	v_fmac_f64_e32 v[56:57], s[6:7], v[60:61]
	v_add_f64 v[60:61], v[58:59], v[66:67]
	v_add_f64 v[106:107], v[60:61], v[74:75]
	;; [unrolled: 1-line block ×3, first 2 shown]
	v_fmac_f64_e32 v[58:59], -0.5, v[60:61]
	v_add_f64 v[60:61], v[64:65], -v[72:73]
	v_fma_f64 v[66:67], s[6:7], v[60:61], v[58:59]
	v_fmac_f64_e32 v[58:59], s[2:3], v[60:61]
	v_mul_f64 v[74:75], v[56:57], -0.5
	v_add_f64 v[96:97], v[96:97], v[68:69]
	v_mul_f64 v[72:73], v[66:67], s[2:3]
	v_fmac_f64_e32 v[74:75], s[2:3], v[58:59]
	v_add_f64 v[62:63], v[98:99], v[106:107]
	v_mul_f64 v[112:113], v[58:59], -0.5
	v_add_f64 v[58:59], v[98:99], -v[106:107]
	s_waitcnt lgkmcnt(1)
	v_add_f64 v[98:99], v[80:81], v[88:89]
	v_add_f64 v[60:61], v[96:97], v[104:105]
	v_fmac_f64_e32 v[72:73], 0.5, v[70:71]
	v_fmac_f64_e32 v[112:113], s[6:7], v[56:57]
	v_add_f64 v[56:57], v[96:97], -v[104:105]
	v_add_f64 v[96:97], v[48:49], v[80:81]
	v_fmac_f64_e32 v[48:49], -0.5, v[98:99]
	v_add_f64 v[98:99], v[82:83], -v[90:91]
	v_add_f64 v[64:65], v[100:101], v[72:73]
	v_mul_f64 v[110:111], v[70:71], s[6:7]
	v_add_f64 v[72:73], v[100:101], -v[72:73]
	v_fma_f64 v[100:101], s[2:3], v[98:99], v[48:49]
	v_fmac_f64_e32 v[48:49], s[6:7], v[98:99]
	v_add_f64 v[98:99], v[50:51], v[82:83]
	v_add_f64 v[82:83], v[82:83], v[90:91]
	v_fmac_f64_e32 v[110:111], 0.5, v[66:67]
	v_fmac_f64_e32 v[50:51], -0.5, v[82:83]
	v_add_f64 v[80:81], v[80:81], -v[88:89]
	v_add_f64 v[68:69], v[52:53], v[74:75]
	v_add_f64 v[66:67], v[102:103], v[110:111]
	v_add_f64 v[52:53], v[52:53], -v[74:75]
	v_add_f64 v[74:75], v[102:103], -v[110:111]
	v_fma_f64 v[102:103], s[6:7], v[80:81], v[50:51]
	v_fmac_f64_e32 v[50:51], s[2:3], v[80:81]
	v_add_f64 v[80:81], v[76:77], v[84:85]
	s_waitcnt lgkmcnt(0)
	v_add_f64 v[104:105], v[80:81], v[92:93]
	v_add_f64 v[80:81], v[84:85], v[92:93]
	v_fmac_f64_e32 v[76:77], -0.5, v[80:81]
	v_add_f64 v[80:81], v[86:87], -v[94:95]
	v_add_f64 v[98:99], v[98:99], v[90:91]
	v_fma_f64 v[90:91], s[2:3], v[80:81], v[76:77]
	v_fmac_f64_e32 v[76:77], s[6:7], v[80:81]
	v_add_f64 v[80:81], v[78:79], v[86:87]
	v_add_f64 v[106:107], v[80:81], v[94:95]
	;; [unrolled: 1-line block ×3, first 2 shown]
	v_fmac_f64_e32 v[78:79], -0.5, v[80:81]
	v_add_f64 v[80:81], v[84:85], -v[92:93]
	v_fma_f64 v[86:87], s[6:7], v[80:81], v[78:79]
	v_fmac_f64_e32 v[78:79], s[2:3], v[80:81]
	v_add_f64 v[70:71], v[54:55], v[112:113]
	v_add_f64 v[54:55], v[54:55], -v[112:113]
	v_add_f64 v[96:97], v[96:97], v[88:89]
	v_mul_f64 v[112:113], v[78:79], -0.5
	v_add_f64 v[80:81], v[96:97], v[104:105]
	v_mul_f64 v[94:95], v[76:77], -0.5
	v_fmac_f64_e32 v[112:113], s[6:7], v[76:77]
	v_add_f64 v[76:77], v[96:97], -v[104:105]
	v_mul_lo_u16_e32 v96, 6, v204
	v_lshlrev_b32_e32 v205, 4, v96
	v_mul_f64 v[92:93], v[86:87], s[2:3]
	v_fmac_f64_e32 v[94:95], s[2:3], v[78:79]
	v_mul_f64 v[110:111], v[90:91], s[6:7]
	s_barrier
	ds_write_b128 v205, v[60:63]
	ds_write_b128 v205, v[64:67] offset:16
	ds_write_b128 v205, v[68:71] offset:32
	;; [unrolled: 1-line block ×5, first 2 shown]
	v_mul_u32_u24_e32 v52, 6, v108
	v_fmac_f64_e32 v[92:93], 0.5, v[90:91]
	v_add_f64 v[88:89], v[48:49], v[94:95]
	v_add_f64 v[82:83], v[98:99], v[106:107]
	v_fmac_f64_e32 v[110:111], 0.5, v[86:87]
	v_add_f64 v[48:49], v[48:49], -v[94:95]
	v_lshlrev_b32_e32 v203, 4, v52
	v_add_f64 v[84:85], v[100:101], v[92:93]
	v_add_f64 v[86:87], v[102:103], v[110:111]
	;; [unrolled: 1-line block ×3, first 2 shown]
	v_add_f64 v[92:93], v[100:101], -v[92:93]
	v_add_f64 v[78:79], v[98:99], -v[106:107]
	;; [unrolled: 1-line block ×4, first 2 shown]
	ds_write_b128 v203, v[80:83]
	ds_write_b128 v203, v[84:87] offset:16
	ds_write_b128 v203, v[88:91] offset:32
	;; [unrolled: 1-line block ×5, first 2 shown]
	v_mul_lo_u16_sdwa v48, v204, s9 dst_sel:DWORD dst_unused:UNUSED_PAD src0_sel:BYTE_0 src1_sel:DWORD
	v_lshrrev_b16_e32 v109, 10, v48
	v_mul_lo_u16_e32 v48, 6, v109
	v_sub_u16_e32 v48, v204, v48
	v_and_b32_e32 v140, 0xff, v48
	v_mad_u64_u32 v[48:49], s[10:11], v140, s8, v[136:137]
	s_waitcnt lgkmcnt(0)
	s_barrier
	global_load_dwordx4 v[76:79], v[48:49], off
	global_load_dwordx4 v[72:75], v[48:49], off offset:16
	global_load_dwordx4 v[68:71], v[48:49], off offset:32
	;; [unrolled: 1-line block ×4, first 2 shown]
	v_mul_lo_u16_sdwa v48, v108, s9 dst_sel:DWORD dst_unused:UNUSED_PAD src0_sel:BYTE_0 src1_sel:DWORD
	v_lshrrev_b16_e32 v141, 10, v48
	v_mul_lo_u16_e32 v48, 6, v141
	v_sub_u16_e32 v48, v108, v48
	v_and_b32_e32 v142, 0xff, v48
	v_mad_u64_u32 v[88:89], s[10:11], v142, s8, v[136:137]
	global_load_dwordx4 v[60:63], v[88:89], off
	global_load_dwordx4 v[56:59], v[88:89], off offset:16
	global_load_dwordx4 v[52:55], v[88:89], off offset:32
	;; [unrolled: 1-line block ×3, first 2 shown]
	ds_read_b128 v[84:87], v200
	ds_read_b128 v[90:93], v200 offset:3456
	ds_read_b128 v[94:97], v200 offset:6912
	;; [unrolled: 1-line block ×8, first 2 shown]
	s_waitcnt vmcnt(8) lgkmcnt(7)
	v_mul_f64 v[106:107], v[92:93], v[78:79]
	v_fma_f64 v[126:127], v[90:91], v[76:77], -v[106:107]
	v_mul_f64 v[90:91], v[90:91], v[78:79]
	v_fmac_f64_e32 v[90:91], v[92:93], v[76:77]
	s_waitcnt vmcnt(7) lgkmcnt(6)
	v_mul_f64 v[92:93], v[96:97], v[74:75]
	v_fma_f64 v[92:93], v[94:95], v[72:73], -v[92:93]
	v_mul_f64 v[94:95], v[94:95], v[74:75]
	v_fmac_f64_e32 v[94:95], v[96:97], v[72:73]
	s_waitcnt vmcnt(6) lgkmcnt(5)
	v_mul_f64 v[96:97], v[100:101], v[70:71]
	v_mul_f64 v[128:129], v[98:99], v[70:71]
	v_fma_f64 v[118:119], v[98:99], v[68:69], -v[96:97]
	v_fmac_f64_e32 v[128:129], v[100:101], v[68:69]
	s_waitcnt vmcnt(5) lgkmcnt(4)
	v_mul_f64 v[96:97], v[104:105], v[66:67]
	v_mul_f64 v[100:101], v[102:103], v[66:67]
	v_fma_f64 v[98:99], v[102:103], v[64:65], -v[96:97]
	;; [unrolled: 5-line block ×3, first 2 shown]
	v_fmac_f64_e32 v[104:105], v[112:113], v[80:81]
	v_add_f64 v[96:97], v[92:93], v[98:99]
	v_add_f64 v[106:107], v[94:95], -v[100:101]
	v_add_f64 v[112:113], v[86:87], v[94:95]
	v_add_f64 v[94:95], v[94:95], v[100:101]
	;; [unrolled: 1-line block ×3, first 2 shown]
	v_fmac_f64_e32 v[84:85], -0.5, v[96:97]
	v_fmac_f64_e32 v[86:87], -0.5, v[94:95]
	v_add_f64 v[92:93], v[92:93], -v[98:99]
	v_fma_f64 v[96:97], s[2:3], v[106:107], v[84:85]
	v_fmac_f64_e32 v[84:85], s[6:7], v[106:107]
	v_fma_f64 v[106:107], s[6:7], v[92:93], v[86:87]
	v_fmac_f64_e32 v[86:87], s[2:3], v[92:93]
	v_add_f64 v[92:93], v[118:119], v[102:103]
	v_add_f64 v[116:117], v[126:127], v[118:119]
	v_fmac_f64_e32 v[126:127], -0.5, v[92:93]
	v_add_f64 v[92:93], v[128:129], -v[104:105]
	v_fma_f64 v[114:115], s[2:3], v[92:93], v[126:127]
	v_fmac_f64_e32 v[126:127], s[6:7], v[92:93]
	v_add_f64 v[92:93], v[128:129], v[104:105]
	v_add_f64 v[120:121], v[90:91], v[128:129]
	v_fmac_f64_e32 v[90:91], -0.5, v[92:93]
	v_add_f64 v[92:93], v[118:119], -v[102:103]
	v_fma_f64 v[118:119], s[6:7], v[92:93], v[90:91]
	v_fmac_f64_e32 v[90:91], s[2:3], v[92:93]
	v_mul_f64 v[128:129], v[126:127], -0.5
	v_fmac_f64_e32 v[128:129], s[2:3], v[90:91]
	v_mul_f64 v[90:91], v[90:91], -0.5
	v_fmac_f64_e32 v[90:91], s[6:7], v[126:127]
	v_add_f64 v[94:95], v[86:87], v[90:91]
	v_add_f64 v[86:87], v[86:87], -v[90:91]
	s_waitcnt vmcnt(3) lgkmcnt(2)
	v_mul_f64 v[90:91], v[124:125], v[62:63]
	v_fma_f64 v[126:127], v[122:123], v[60:61], -v[90:91]
	s_waitcnt vmcnt(2) lgkmcnt(1)
	v_mul_f64 v[90:91], v[132:133], v[58:59]
	v_mul_f64 v[138:139], v[130:131], v[58:59]
	v_fma_f64 v[134:135], v[130:131], v[56:57], -v[90:91]
	v_fmac_f64_e32 v[138:139], v[132:133], v[56:57]
	s_waitcnt vmcnt(1) lgkmcnt(0)
	v_mul_f64 v[90:91], v[146:147], v[54:55]
	v_mul_f64 v[132:133], v[144:145], v[54:55]
	v_fma_f64 v[130:131], v[144:145], v[52:53], -v[90:91]
	v_fmac_f64_e32 v[132:133], v[146:147], v[52:53]
	ds_read_b128 v[144:147], v200 offset:15552
	v_add_f64 v[92:93], v[84:85], v[128:129]
	v_add_f64 v[84:85], v[84:85], -v[128:129]
	v_mul_f64 v[128:129], v[122:123], v[62:63]
	v_fmac_f64_e32 v[128:129], v[124:125], v[60:61]
	s_waitcnt vmcnt(0) lgkmcnt(0)
	v_mul_f64 v[90:91], v[146:147], v[50:51]
	v_fma_f64 v[122:123], v[144:145], v[48:49], -v[90:91]
	global_load_dwordx4 v[88:91], v[88:89], off offset:64
	v_mul_f64 v[124:125], v[144:145], v[50:51]
	v_fmac_f64_e32 v[124:125], v[146:147], v[48:49]
	ds_read_b128 v[144:147], v200 offset:19008
	v_add_f64 v[154:155], v[134:135], v[122:123]
	v_add_f64 v[102:103], v[116:117], v[102:103]
	v_mul_f64 v[116:117], v[118:119], s[2:3]
	v_add_f64 v[110:111], v[110:111], v[98:99]
	v_fmac_f64_e32 v[116:117], 0.5, v[114:115]
	v_add_f64 v[104:105], v[120:121], v[104:105]
	v_add_f64 v[98:99], v[110:111], v[102:103]
	v_add_f64 v[102:103], v[110:111], -v[102:103]
	v_mul_f64 v[120:121], v[114:115], s[6:7]
	v_add_f64 v[110:111], v[96:97], v[116:117]
	v_add_f64 v[114:115], v[96:97], -v[116:117]
	v_fmac_f64_e32 v[120:121], 0.5, v[118:119]
	v_add_f64 v[112:113], v[112:113], v[100:101]
	v_add_f64 v[100:101], v[112:113], v[104:105]
	v_add_f64 v[104:105], v[112:113], -v[104:105]
	v_add_f64 v[112:113], v[106:107], v[120:121]
	v_add_f64 v[116:117], v[106:107], -v[120:121]
	s_waitcnt vmcnt(0) lgkmcnt(0)
	v_mul_f64 v[148:149], v[146:147], v[90:91]
	v_mul_f64 v[150:151], v[144:145], v[90:91]
	v_fma_f64 v[148:149], v[144:145], v[88:89], -v[148:149]
	v_fmac_f64_e32 v[150:151], v[146:147], v[88:89]
	ds_read_b128 v[144:147], v200 offset:1728
	v_add_f64 v[158:159], v[130:131], v[148:149]
	s_waitcnt lgkmcnt(0)
	s_barrier
	v_add_f64 v[152:153], v[144:145], v[134:135]
	v_fmac_f64_e32 v[144:145], -0.5, v[154:155]
	v_add_f64 v[154:155], v[138:139], -v[124:125]
	v_fma_f64 v[156:157], s[2:3], v[154:155], v[144:145]
	v_fmac_f64_e32 v[144:145], s[6:7], v[154:155]
	v_add_f64 v[154:155], v[146:147], v[138:139]
	v_add_f64 v[138:139], v[138:139], v[124:125]
	v_fmac_f64_e32 v[146:147], -0.5, v[138:139]
	v_add_f64 v[134:135], v[134:135], -v[122:123]
	v_fma_f64 v[138:139], s[6:7], v[134:135], v[146:147]
	v_fmac_f64_e32 v[146:147], s[2:3], v[134:135]
	v_add_f64 v[134:135], v[126:127], v[130:131]
	v_fmac_f64_e32 v[126:127], -0.5, v[158:159]
	v_add_f64 v[158:159], v[132:133], -v[150:151]
	v_fma_f64 v[160:161], s[2:3], v[158:159], v[126:127]
	v_fmac_f64_e32 v[126:127], s[6:7], v[158:159]
	v_add_f64 v[158:159], v[128:129], v[132:133]
	v_add_f64 v[132:133], v[132:133], v[150:151]
	v_fmac_f64_e32 v[128:129], -0.5, v[132:133]
	v_add_f64 v[130:131], v[130:131], -v[148:149]
	v_fma_f64 v[162:163], s[6:7], v[130:131], v[128:129]
	v_add_f64 v[96:97], v[152:153], v[122:123]
	v_add_f64 v[122:123], v[134:135], v[148:149]
	v_fmac_f64_e32 v[128:129], s[2:3], v[130:131]
	v_mul_f64 v[130:131], v[126:127], -0.5
	v_add_f64 v[118:119], v[96:97], v[122:123]
	v_add_f64 v[122:123], v[96:97], -v[122:123]
	v_mul_f64 v[96:97], v[162:163], s[2:3]
	v_fmac_f64_e32 v[130:131], s[2:3], v[128:129]
	v_mul_f64 v[132:133], v[128:129], -0.5
	v_fmac_f64_e32 v[96:97], 0.5, v[160:161]
	v_fmac_f64_e32 v[132:133], s[6:7], v[126:127]
	v_add_f64 v[126:127], v[144:145], v[130:131]
	v_add_f64 v[130:131], v[144:145], -v[130:131]
	v_add_f64 v[144:145], v[156:157], v[96:97]
	v_add_f64 v[148:149], v[156:157], -v[96:97]
	v_mul_u32_u24_e32 v96, 36, v109
	v_add_lshl_u32 v215, v96, v140, 4
	v_add_f64 v[106:107], v[154:155], v[124:125]
	v_add_f64 v[124:125], v[158:159], v[150:151]
	ds_write_b128 v215, v[98:101]
	ds_write_b128 v215, v[110:113] offset:96
	ds_write_b128 v215, v[92:95] offset:192
	;; [unrolled: 1-line block ×5, first 2 shown]
	v_mul_u32_u24_e32 v84, 36, v141
	v_mov_b32_e32 v109, 57
	v_add_f64 v[120:121], v[106:107], v[124:125]
	v_add_f64 v[124:125], v[106:107], -v[124:125]
	v_mul_f64 v[106:107], v[160:161], s[6:7]
	v_add_lshl_u32 v214, v84, v142, 4
	v_mul_lo_u16_sdwa v84, v204, v109 dst_sel:DWORD dst_unused:UNUSED_PAD src0_sel:BYTE_0 src1_sel:DWORD
	v_fmac_f64_e32 v[106:107], 0.5, v[162:163]
	v_lshrrev_b16_e32 v162, 11, v84
	v_mul_lo_u16_e32 v84, 36, v162
	v_sub_u16_e32 v84, v204, v84
	v_and_b32_e32 v163, 0xff, v84
	v_mad_u64_u32 v[110:111], s[10:11], v163, s8, v[136:137]
	v_add_f64 v[128:129], v[146:147], v[132:133]
	v_add_f64 v[132:133], v[146:147], -v[132:133]
	v_add_f64 v[146:147], v[138:139], v[106:107]
	v_add_f64 v[150:151], v[138:139], -v[106:107]
	ds_write_b128 v214, v[118:121]
	ds_write_b128 v214, v[144:147] offset:96
	ds_write_b128 v214, v[126:129] offset:192
	;; [unrolled: 1-line block ×5, first 2 shown]
	s_waitcnt lgkmcnt(0)
	s_barrier
	global_load_dwordx4 v[104:107], v[110:111], off offset:480
	global_load_dwordx4 v[100:103], v[110:111], off offset:496
	;; [unrolled: 1-line block ×5, first 2 shown]
	ds_read_b128 v[110:113], v200 offset:3456
	ds_read_b128 v[114:117], v200 offset:6912
	;; [unrolled: 1-line block ×5, first 2 shown]
	v_mul_lo_u16_sdwa v109, v108, v109 dst_sel:DWORD dst_unused:UNUSED_PAD src0_sel:BYTE_0 src1_sel:DWORD
	v_lshrrev_b16_e32 v210, 11, v109
	v_mul_lo_u16_e32 v109, 36, v210
	v_sub_u16_e32 v108, v108, v109
	v_and_b32_e32 v211, 0xff, v108
	v_mad_u64_u32 v[164:165], s[10:11], v211, s8, v[136:137]
	s_waitcnt vmcnt(4) lgkmcnt(4)
	v_mul_f64 v[130:131], v[112:113], v[106:107]
	v_fma_f64 v[130:131], v[110:111], v[104:105], -v[130:131]
	v_mul_f64 v[132:133], v[110:111], v[106:107]
	s_waitcnt vmcnt(3) lgkmcnt(3)
	v_mul_f64 v[110:111], v[116:117], v[102:103]
	v_fma_f64 v[134:135], v[114:115], v[100:101], -v[110:111]
	v_mul_f64 v[114:115], v[114:115], v[102:103]
	s_waitcnt vmcnt(2) lgkmcnt(2)
	v_mul_f64 v[110:111], v[120:121], v[98:99]
	v_fmac_f64_e32 v[114:115], v[116:117], v[100:101]
	v_fma_f64 v[116:117], v[118:119], v[96:97], -v[110:111]
	s_waitcnt vmcnt(1) lgkmcnt(1)
	v_mul_f64 v[110:111], v[124:125], v[94:95]
	v_fma_f64 v[140:141], v[122:123], v[92:93], -v[110:111]
	s_waitcnt vmcnt(0) lgkmcnt(0)
	v_mul_f64 v[110:111], v[128:129], v[86:87]
	v_fmac_f64_e32 v[132:133], v[112:113], v[104:105]
	v_fma_f64 v[144:145], v[126:127], v[84:85], -v[110:111]
	ds_read_b128 v[110:113], v200
	v_mul_f64 v[142:143], v[122:123], v[94:95]
	v_fmac_f64_e32 v[142:143], v[124:125], v[92:93]
	v_mul_f64 v[146:147], v[126:127], v[86:87]
	global_load_dwordx4 v[124:127], v[164:165], off offset:480
	v_mul_f64 v[118:119], v[118:119], v[98:99]
	v_fmac_f64_e32 v[118:119], v[120:121], v[96:97]
	v_add_f64 v[120:121], v[134:135], v[140:141]
	s_waitcnt lgkmcnt(0)
	v_add_f64 v[150:151], v[110:111], v[134:135]
	v_fmac_f64_e32 v[110:111], -0.5, v[120:121]
	v_add_f64 v[120:121], v[114:115], -v[142:143]
	v_add_f64 v[152:153], v[112:113], v[114:115]
	v_add_f64 v[114:115], v[114:115], v[142:143]
	v_fmac_f64_e32 v[112:113], -0.5, v[114:115]
	v_add_f64 v[114:115], v[134:135], -v[140:141]
	v_fmac_f64_e32 v[146:147], v[128:129], v[84:85]
	v_fma_f64 v[148:149], s[6:7], v[114:115], v[112:113]
	v_fmac_f64_e32 v[112:113], s[2:3], v[114:115]
	v_add_f64 v[114:115], v[116:117], v[144:145]
	v_fma_f64 v[138:139], s[2:3], v[120:121], v[110:111]
	v_fmac_f64_e32 v[110:111], s[6:7], v[120:121]
	global_load_dwordx4 v[120:123], v[164:165], off offset:496
	v_add_f64 v[156:157], v[130:131], v[116:117]
	v_fmac_f64_e32 v[130:131], -0.5, v[114:115]
	v_add_f64 v[114:115], v[118:119], -v[146:147]
	v_fma_f64 v[154:155], s[2:3], v[114:115], v[130:131]
	v_fmac_f64_e32 v[130:131], s[6:7], v[114:115]
	v_add_f64 v[114:115], v[118:119], v[146:147]
	v_add_f64 v[160:161], v[132:133], v[118:119]
	v_fmac_f64_e32 v[132:133], -0.5, v[114:115]
	v_add_f64 v[114:115], v[116:117], -v[144:145]
	v_fma_f64 v[158:159], s[6:7], v[114:115], v[132:133]
	v_fmac_f64_e32 v[132:133], s[2:3], v[114:115]
	v_mul_f64 v[116:117], v[132:133], -0.5
	v_fmac_f64_e32 v[116:117], s[6:7], v[130:131]
	v_mul_f64 v[114:115], v[130:131], -0.5
	v_add_f64 v[134:135], v[112:113], v[116:117]
	v_add_f64 v[130:131], v[112:113], -v[116:117]
	global_load_dwordx4 v[116:119], v[164:165], off offset:512
	v_fmac_f64_e32 v[114:115], s[2:3], v[132:133]
	v_add_f64 v[132:133], v[110:111], v[114:115]
	v_add_f64 v[128:129], v[110:111], -v[114:115]
	ds_read_b128 v[108:111], v200 offset:5184
	v_add_f64 v[144:145], v[156:157], v[144:145]
	v_mul_f64 v[156:157], v[158:159], s[2:3]
	v_add_f64 v[150:151], v[150:151], v[140:141]
	v_fmac_f64_e32 v[156:157], 0.5, v[154:155]
	v_add_f64 v[146:147], v[160:161], v[146:147]
	v_add_f64 v[140:141], v[150:151], v[144:145]
	v_add_f64 v[144:145], v[150:151], -v[144:145]
	v_mul_f64 v[160:161], v[154:155], s[6:7]
	v_add_f64 v[150:151], v[138:139], v[156:157]
	v_add_f64 v[154:155], v[138:139], -v[156:157]
	v_fmac_f64_e32 v[160:161], 0.5, v[158:159]
	v_add_f64 v[152:153], v[152:153], v[142:143]
	v_add_f64 v[142:143], v[152:153], v[146:147]
	v_add_f64 v[146:147], v[152:153], -v[146:147]
	v_add_f64 v[152:153], v[148:149], v[160:161]
	v_add_f64 v[156:157], v[148:149], -v[160:161]
	s_waitcnt vmcnt(2) lgkmcnt(0)
	v_mul_f64 v[112:113], v[110:111], v[126:127]
	v_mul_f64 v[170:171], v[108:109], v[126:127]
	v_fma_f64 v[168:169], v[108:109], v[124:125], -v[112:113]
	v_fmac_f64_e32 v[170:171], v[110:111], v[124:125]
	ds_read_b128 v[108:111], v200 offset:8640
	s_waitcnt vmcnt(1) lgkmcnt(0)
	v_mul_f64 v[112:113], v[110:111], v[122:123]
	v_mul_f64 v[174:175], v[108:109], v[122:123]
	v_fma_f64 v[172:173], v[108:109], v[120:121], -v[112:113]
	v_fmac_f64_e32 v[174:175], v[110:111], v[120:121]
	ds_read_b128 v[108:111], v200 offset:12096
	s_waitcnt vmcnt(0) lgkmcnt(0)
	v_mul_f64 v[112:113], v[110:111], v[118:119]
	v_mul_f64 v[178:179], v[108:109], v[118:119]
	v_fma_f64 v[176:177], v[108:109], v[116:117], -v[112:113]
	v_fmac_f64_e32 v[178:179], v[110:111], v[116:117]
	global_load_dwordx4 v[108:111], v[164:165], off offset:528
	ds_read_b128 v[112:115], v200 offset:15552
	s_waitcnt vmcnt(0) lgkmcnt(0)
	v_mul_f64 v[166:167], v[114:115], v[110:111]
	v_mul_f64 v[182:183], v[112:113], v[110:111]
	v_fma_f64 v[180:181], v[112:113], v[108:109], -v[166:167]
	v_fmac_f64_e32 v[182:183], v[114:115], v[108:109]
	global_load_dwordx4 v[112:115], v[164:165], off offset:544
	ds_read_b128 v[164:167], v200 offset:19008
	v_add_f64 v[192:193], v[172:173], v[180:181]
	s_waitcnt vmcnt(0) lgkmcnt(0)
	v_mul_f64 v[184:185], v[166:167], v[114:115]
	v_mul_f64 v[186:187], v[164:165], v[114:115]
	v_fma_f64 v[184:185], v[164:165], v[112:113], -v[184:185]
	v_fmac_f64_e32 v[186:187], v[166:167], v[112:113]
	ds_read_b128 v[164:167], v200 offset:1728
	s_waitcnt lgkmcnt(0)
	s_barrier
	v_add_f64 v[190:191], v[164:165], v[172:173]
	v_fmac_f64_e32 v[164:165], -0.5, v[192:193]
	v_add_f64 v[192:193], v[174:175], -v[182:183]
	v_fma_f64 v[194:195], s[2:3], v[192:193], v[164:165]
	v_fmac_f64_e32 v[164:165], s[6:7], v[192:193]
	v_add_f64 v[192:193], v[166:167], v[174:175]
	v_add_f64 v[174:175], v[174:175], v[182:183]
	v_fmac_f64_e32 v[166:167], -0.5, v[174:175]
	v_add_f64 v[172:173], v[172:173], -v[180:181]
	v_add_f64 v[174:175], v[176:177], v[184:185]
	v_fma_f64 v[196:197], s[6:7], v[172:173], v[166:167]
	v_fmac_f64_e32 v[166:167], s[2:3], v[172:173]
	v_add_f64 v[172:173], v[168:169], v[176:177]
	v_fmac_f64_e32 v[168:169], -0.5, v[174:175]
	v_add_f64 v[174:175], v[178:179], -v[186:187]
	v_fma_f64 v[198:199], s[2:3], v[174:175], v[168:169]
	v_fmac_f64_e32 v[168:169], s[6:7], v[174:175]
	v_add_f64 v[174:175], v[170:171], v[178:179]
	v_add_f64 v[178:179], v[178:179], v[186:187]
	v_fmac_f64_e32 v[170:171], -0.5, v[178:179]
	v_add_f64 v[176:177], v[176:177], -v[184:185]
	v_fma_f64 v[178:179], s[6:7], v[176:177], v[170:171]
	v_add_f64 v[138:139], v[190:191], v[180:181]
	v_add_f64 v[172:173], v[172:173], v[184:185]
	v_fmac_f64_e32 v[170:171], s[2:3], v[176:177]
	v_mul_f64 v[176:177], v[168:169], -0.5
	v_add_f64 v[158:159], v[138:139], v[172:173]
	v_add_f64 v[172:173], v[138:139], -v[172:173]
	v_mul_f64 v[138:139], v[178:179], s[2:3]
	v_fmac_f64_e32 v[176:177], s[2:3], v[170:171]
	v_mul_f64 v[208:209], v[170:171], -0.5
	v_fmac_f64_e32 v[138:139], 0.5, v[198:199]
	v_fmac_f64_e32 v[208:209], s[6:7], v[168:169]
	v_add_f64 v[168:169], v[164:165], v[176:177]
	v_add_f64 v[164:165], v[164:165], -v[176:177]
	v_add_f64 v[148:149], v[192:193], v[182:183]
	v_add_f64 v[174:175], v[174:175], v[186:187]
	;; [unrolled: 1-line block ×3, first 2 shown]
	v_add_f64 v[180:181], v[194:195], -v[138:139]
	v_mul_u32_u24_e32 v138, 0xd8, v162
	v_add_f64 v[160:161], v[148:149], v[174:175]
	v_add_f64 v[174:175], v[148:149], -v[174:175]
	v_mul_f64 v[148:149], v[198:199], s[6:7]
	v_add_lshl_u32 v217, v138, v163, 4
	v_fmac_f64_e32 v[148:149], 0.5, v[178:179]
	ds_write_b128 v217, v[140:143]
	ds_write_b128 v217, v[150:153] offset:576
	ds_write_b128 v217, v[132:135] offset:1152
	;; [unrolled: 1-line block ×5, first 2 shown]
	v_mul_u32_u24_e32 v128, 0xd8, v210
	v_add_f64 v[178:179], v[196:197], v[148:149]
	v_add_f64 v[182:183], v[196:197], -v[148:149]
	v_add_lshl_u32 v216, v128, v211, 4
	v_mad_u64_u32 v[148:149], s[8:9], v204, s8, v[136:137]
	v_add_f64 v[170:171], v[166:167], v[208:209]
	v_add_f64 v[166:167], v[166:167], -v[208:209]
	ds_write_b128 v216, v[158:161]
	ds_write_b128 v216, v[176:179] offset:576
	ds_write_b128 v216, v[168:171] offset:1152
	;; [unrolled: 1-line block ×5, first 2 shown]
	s_waitcnt lgkmcnt(0)
	s_barrier
	global_load_dwordx4 v[128:131], v[148:149], off offset:3360
	ds_read_b128 v[132:135], v200 offset:3456
	s_mov_b64 s[8:9], 0x21c0
	v_lshl_add_u64 v[210:211], v[148:149], 0, s[8:9]
	s_movk_i32 s8, 0x5000
	s_waitcnt vmcnt(0) lgkmcnt(0)
	v_mul_f64 v[136:137], v[134:135], v[130:131]
	v_mul_f64 v[156:157], v[132:133], v[130:131]
	v_fma_f64 v[154:155], v[132:133], v[128:129], -v[136:137]
	v_fmac_f64_e32 v[156:157], v[134:135], v[128:129]
	global_load_dwordx4 v[132:135], v[148:149], off offset:3376
	ds_read_b128 v[136:139], v200 offset:6912
	s_waitcnt vmcnt(0) lgkmcnt(0)
	v_mul_f64 v[140:141], v[138:139], v[134:135]
	v_mul_f64 v[160:161], v[136:137], v[134:135]
	v_fma_f64 v[158:159], v[136:137], v[132:133], -v[140:141]
	v_fmac_f64_e32 v[160:161], v[138:139], v[132:133]
	global_load_dwordx4 v[136:139], v[148:149], off offset:3392
	ds_read_b128 v[140:143], v200 offset:10368
	;; [unrolled: 7-line block ×3, first 2 shown]
	v_add_f64 v[196:197], v[154:155], v[162:163]
	v_add_f64 v[208:209], v[156:157], v[164:165]
	s_waitcnt vmcnt(0) lgkmcnt(0)
	v_mul_f64 v[150:151], v[146:147], v[142:143]
	v_mul_f64 v[178:179], v[144:145], v[142:143]
	v_fma_f64 v[176:177], v[144:145], v[140:141], -v[150:151]
	v_fmac_f64_e32 v[178:179], v[146:147], v[140:141]
	global_load_dwordx4 v[144:147], v[148:149], off offset:3424
	ds_read_b128 v[150:153], v200 offset:17280
	s_waitcnt vmcnt(0) lgkmcnt(0)
	v_mul_f64 v[166:167], v[152:153], v[146:147]
	v_mul_f64 v[184:185], v[150:151], v[146:147]
	v_fma_f64 v[182:183], v[150:151], v[144:145], -v[166:167]
	v_fmac_f64_e32 v[184:185], v[152:153], v[144:145]
	ds_read_b128 v[150:153], v200
	v_add_f64 v[166:167], v[158:159], v[176:177]
	s_waitcnt lgkmcnt(0)
	v_add_f64 v[190:191], v[150:151], v[158:159]
	v_fmac_f64_e32 v[150:151], -0.5, v[166:167]
	v_add_f64 v[166:167], v[160:161], -v[178:179]
	v_add_f64 v[192:193], v[152:153], v[160:161]
	v_add_f64 v[160:161], v[160:161], v[178:179]
	v_fmac_f64_e32 v[152:153], -0.5, v[160:161]
	v_add_f64 v[158:159], v[158:159], -v[176:177]
	v_fma_f64 v[186:187], s[6:7], v[158:159], v[152:153]
	v_fmac_f64_e32 v[152:153], s[2:3], v[158:159]
	v_add_f64 v[158:159], v[162:163], v[182:183]
	v_fmac_f64_e32 v[154:155], -0.5, v[158:159]
	v_add_f64 v[158:159], v[164:165], -v[184:185]
	v_fma_f64 v[194:195], s[2:3], v[158:159], v[154:155]
	v_fmac_f64_e32 v[154:155], s[6:7], v[158:159]
	;; [unrolled: 5-line block ×3, first 2 shown]
	v_mul_f64 v[158:159], v[154:155], -0.5
	v_fma_f64 v[180:181], s[2:3], v[166:167], v[150:151]
	v_fmac_f64_e32 v[150:151], s[6:7], v[166:167]
	v_fmac_f64_e32 v[158:159], s[2:3], v[156:157]
	v_add_f64 v[172:173], v[150:151], v[158:159]
	v_add_f64 v[168:169], v[150:151], -v[158:159]
	global_load_dwordx4 v[148:151], v[210:211], off offset:3360
	v_mul_f64 v[156:157], v[156:157], -0.5
	v_fmac_f64_e32 v[156:157], s[6:7], v[154:155]
	v_add_f64 v[174:175], v[152:153], v[156:157]
	v_add_f64 v[170:171], v[152:153], -v[156:157]
	ds_read_b128 v[152:155], v200 offset:5184
	v_add_f64 v[182:183], v[196:197], v[182:183]
	v_add_f64 v[184:185], v[208:209], v[184:185]
	v_mul_f64 v[196:197], v[198:199], s[2:3]
	v_mul_f64 v[208:209], v[194:195], s[6:7]
	v_add_f64 v[190:191], v[190:191], v[176:177]
	v_add_f64 v[192:193], v[192:193], v[178:179]
	v_fmac_f64_e32 v[196:197], 0.5, v[194:195]
	v_fmac_f64_e32 v[208:209], 0.5, v[198:199]
	v_add_f64 v[176:177], v[190:191], v[182:183]
	v_add_f64 v[178:179], v[192:193], v[184:185]
	v_add_f64 v[182:183], v[190:191], -v[182:183]
	v_add_f64 v[184:185], v[192:193], -v[184:185]
	v_add_f64 v[190:191], v[180:181], v[196:197]
	v_add_f64 v[192:193], v[186:187], v[208:209]
	v_add_f64 v[194:195], v[180:181], -v[196:197]
	v_add_f64 v[196:197], v[186:187], -v[208:209]
	s_waitcnt vmcnt(0) lgkmcnt(0)
	v_mul_f64 v[156:157], v[154:155], v[150:151]
	v_mul_f64 v[220:221], v[152:153], v[150:151]
	v_fma_f64 v[218:219], v[152:153], v[148:149], -v[156:157]
	v_fmac_f64_e32 v[220:221], v[154:155], v[148:149]
	global_load_dwordx4 v[152:155], v[210:211], off offset:3376
	ds_read_b128 v[156:159], v200 offset:8640
	s_waitcnt vmcnt(0) lgkmcnt(0)
	v_mul_f64 v[160:161], v[158:159], v[154:155]
	v_mul_f64 v[224:225], v[156:157], v[154:155]
	v_fma_f64 v[222:223], v[156:157], v[152:153], -v[160:161]
	v_fmac_f64_e32 v[224:225], v[158:159], v[152:153]
	global_load_dwordx4 v[156:159], v[210:211], off offset:3392
	ds_read_b128 v[160:163], v200 offset:12096
	;; [unrolled: 7-line block ×4, first 2 shown]
	v_add_f64 v[240:241], v[222:223], v[230:231]
	s_waitcnt vmcnt(0) lgkmcnt(0)
	v_mul_f64 v[234:235], v[212:213], v[166:167]
	v_mul_f64 v[236:237], v[210:211], v[166:167]
	v_fma_f64 v[234:235], v[210:211], v[164:165], -v[234:235]
	v_fmac_f64_e32 v[236:237], v[212:213], v[164:165]
	ds_read_b128 v[210:213], v200 offset:1728
	s_waitcnt lgkmcnt(0)
	v_add_f64 v[238:239], v[210:211], v[222:223]
	v_fmac_f64_e32 v[210:211], -0.5, v[240:241]
	v_add_f64 v[240:241], v[224:225], -v[232:233]
	v_fma_f64 v[242:243], s[2:3], v[240:241], v[210:211]
	v_fmac_f64_e32 v[210:211], s[6:7], v[240:241]
	v_add_f64 v[240:241], v[212:213], v[224:225]
	v_add_f64 v[224:225], v[224:225], v[232:233]
	v_fmac_f64_e32 v[212:213], -0.5, v[224:225]
	v_add_f64 v[222:223], v[222:223], -v[230:231]
	v_add_f64 v[224:225], v[226:227], v[234:235]
	v_fma_f64 v[244:245], s[6:7], v[222:223], v[212:213]
	v_fmac_f64_e32 v[212:213], s[2:3], v[222:223]
	v_add_f64 v[222:223], v[218:219], v[226:227]
	v_fmac_f64_e32 v[218:219], -0.5, v[224:225]
	v_add_f64 v[224:225], v[228:229], -v[236:237]
	v_fma_f64 v[246:247], s[2:3], v[224:225], v[218:219]
	v_fmac_f64_e32 v[218:219], s[6:7], v[224:225]
	v_add_f64 v[224:225], v[220:221], v[228:229]
	v_add_f64 v[228:229], v[228:229], v[236:237]
	v_fmac_f64_e32 v[220:221], -0.5, v[228:229]
	v_add_f64 v[226:227], v[226:227], -v[234:235]
	v_fma_f64 v[248:249], s[6:7], v[226:227], v[220:221]
	v_fmac_f64_e32 v[220:221], s[2:3], v[226:227]
	v_mul_f64 v[226:227], v[218:219], -0.5
	v_mul_f64 v[228:229], v[220:221], -0.5
	v_fmac_f64_e32 v[226:227], s[2:3], v[220:221]
	v_fmac_f64_e32 v[228:229], s[6:7], v[218:219]
	v_add_f64 v[180:181], v[238:239], v[230:231]
	v_add_f64 v[186:187], v[240:241], v[232:233]
	v_add_f64 v[198:199], v[222:223], v[234:235]
	v_add_f64 v[208:209], v[224:225], v[236:237]
	v_add_f64 v[218:219], v[210:211], v[226:227]
	v_add_f64 v[220:221], v[212:213], v[228:229]
	v_add_f64 v[210:211], v[210:211], -v[226:227]
	v_add_f64 v[212:213], v[212:213], -v[228:229]
	v_add_f64 v[222:223], v[180:181], v[198:199]
	v_add_f64 v[224:225], v[186:187], v[208:209]
	v_add_f64 v[226:227], v[180:181], -v[198:199]
	v_add_f64 v[228:229], v[186:187], -v[208:209]
	v_mul_f64 v[180:181], v[248:249], s[2:3]
	v_mul_f64 v[186:187], v[246:247], s[6:7]
	v_fmac_f64_e32 v[180:181], 0.5, v[246:247]
	v_fmac_f64_e32 v[186:187], 0.5, v[248:249]
	v_add_f64 v[230:231], v[242:243], v[180:181]
	v_add_f64 v[232:233], v[244:245], v[186:187]
	v_add_f64 v[234:235], v[242:243], -v[180:181]
	v_add_f64 v[236:237], v[244:245], -v[186:187]
	ds_write_b128 v200, v[176:179]
	ds_write_b128 v200, v[190:193] offset:3456
	ds_write_b128 v200, v[172:175] offset:6912
	;; [unrolled: 1-line block ×11, first 2 shown]
	v_add_co_u32_e32 v168, vcc, s8, v188
	s_waitcnt lgkmcnt(0)
	s_nop 0
	v_addc_co_u32_e32 v169, vcc, 0, v189, vcc
	s_barrier
	global_load_dwordx4 v[172:175], v[168:169], off offset:256
	ds_read_b128 v[176:179], v200
	ds_read_b128 v[222:225], v200 offset:1728
	s_mov_b64 s[8:9], 0x5100
	v_lshl_add_u64 v[198:199], v[188:189], 0, s[8:9]
	ds_read_b128 v[180:183], v200 offset:3456
	ds_read_b128 v[184:187], v200 offset:6912
	s_movk_i32 s8, 0x6000
	v_add_co_u32_e32 v196, vcc, s8, v188
	s_movk_i32 s8, 0x7000
	s_nop 0
	v_addc_co_u32_e32 v197, vcc, 0, v189, vcc
	v_add_co_u32_e32 v212, vcc, s8, v188
	ds_read_b128 v[190:193], v200 offset:10368
	ds_read_b128 v[218:221], v200 offset:13824
	v_addc_co_u32_e32 v213, vcc, 0, v189, vcc
	s_mov_b32 s8, 0x8000
	v_add_co_u32_e32 v210, vcc, s8, v188
	s_mov_b32 s8, 0x9000
	s_nop 0
	v_addc_co_u32_e32 v211, vcc, 0, v189, vcc
	v_add_co_u32_e32 v208, vcc, s8, v188
	s_waitcnt vmcnt(0) lgkmcnt(5)
	v_mul_f64 v[168:169], v[178:179], v[174:175]
	v_mul_f64 v[170:171], v[176:177], v[174:175]
	v_fma_f64 v[168:169], v[176:177], v[172:173], -v[168:169]
	v_fmac_f64_e32 v[170:171], v[178:179], v[172:173]
	global_load_dwordx4 v[176:179], v[198:199], off offset:3456
	v_addc_co_u32_e32 v209, vcc, 0, v189, vcc
	s_waitcnt vmcnt(0) lgkmcnt(3)
	v_mul_f64 v[172:173], v[182:183], v[178:179]
	v_mul_f64 v[174:175], v[180:181], v[178:179]
	v_fma_f64 v[172:173], v[180:181], v[176:177], -v[172:173]
	v_fmac_f64_e32 v[174:175], v[182:183], v[176:177]
	global_load_dwordx4 v[180:183], v[196:197], off offset:3072
	s_waitcnt vmcnt(0) lgkmcnt(2)
	v_mul_f64 v[176:177], v[186:187], v[182:183]
	v_mul_f64 v[178:179], v[184:185], v[182:183]
	v_fma_f64 v[176:177], v[184:185], v[180:181], -v[176:177]
	v_fmac_f64_e32 v[178:179], v[186:187], v[180:181]
	global_load_dwordx4 v[184:187], v[212:213], off offset:2432
	;; [unrolled: 6-line block ×3, first 2 shown]
	s_waitcnt vmcnt(0) lgkmcnt(0)
	v_mul_f64 v[184:185], v[220:221], v[192:193]
	v_mul_f64 v[186:187], v[218:219], v[192:193]
	global_load_dwordx4 v[192:195], v[208:209], off offset:1152
	v_fma_f64 v[184:185], v[218:219], v[190:191], -v[184:185]
	v_fmac_f64_e32 v[186:187], v[220:221], v[190:191]
	ds_read_b128 v[218:221], v200 offset:17280
	s_waitcnt vmcnt(0) lgkmcnt(0)
	v_mul_f64 v[188:189], v[220:221], v[194:195]
	v_mul_f64 v[190:191], v[218:219], v[194:195]
	v_fma_f64 v[188:189], v[218:219], v[192:193], -v[188:189]
	v_fmac_f64_e32 v[190:191], v[220:221], v[192:193]
	global_load_dwordx4 v[218:221], v[198:199], off offset:1728
	s_waitcnt vmcnt(0)
	v_mul_f64 v[192:193], v[224:225], v[220:221]
	v_mul_f64 v[194:195], v[222:223], v[220:221]
	v_fma_f64 v[192:193], v[222:223], v[218:219], -v[192:193]
	v_fmac_f64_e32 v[194:195], v[224:225], v[218:219]
	global_load_dwordx4 v[218:221], v[196:197], off offset:1344
	ds_read_b128 v[222:225], v200 offset:5184
	s_waitcnt vmcnt(0) lgkmcnt(0)
	v_mul_f64 v[196:197], v[224:225], v[220:221]
	v_mul_f64 v[198:199], v[222:223], v[220:221]
	v_fma_f64 v[196:197], v[222:223], v[218:219], -v[196:197]
	v_fmac_f64_e32 v[198:199], v[224:225], v[218:219]
	global_load_dwordx4 v[218:221], v[212:213], off offset:704
	ds_read_b128 v[222:225], v200 offset:8640
	s_waitcnt vmcnt(0) lgkmcnt(0)
	;; [unrolled: 7-line block ×3, first 2 shown]
	v_mul_f64 v[212:213], v[224:225], v[220:221]
	v_fma_f64 v[230:231], v[222:223], v[218:219], -v[212:213]
	global_load_dwordx4 v[210:213], v[210:211], off offset:3520
	v_mul_f64 v[232:233], v[222:223], v[220:221]
	v_fmac_f64_e32 v[232:233], v[224:225], v[218:219]
	ds_read_b128 v[218:221], v200 offset:15552
	s_waitcnt vmcnt(0) lgkmcnt(0)
	v_mul_f64 v[222:223], v[220:221], v[212:213]
	v_mul_f64 v[224:225], v[218:219], v[212:213]
	v_fma_f64 v[222:223], v[218:219], v[210:211], -v[222:223]
	v_fmac_f64_e32 v[224:225], v[220:221], v[210:211]
	global_load_dwordx4 v[208:211], v[208:209], off offset:2880
	ds_read_b128 v[218:221], v200 offset:19008
	s_waitcnt vmcnt(0) lgkmcnt(0)
	v_mul_f64 v[212:213], v[220:221], v[210:211]
	v_mul_f64 v[236:237], v[218:219], v[210:211]
	v_fma_f64 v[234:235], v[218:219], v[208:209], -v[212:213]
	v_fmac_f64_e32 v[236:237], v[220:221], v[208:209]
	ds_write_b128 v200, v[168:171]
	ds_write_b128 v200, v[172:175] offset:3456
	ds_write_b128 v200, v[176:179] offset:6912
	;; [unrolled: 1-line block ×11, first 2 shown]
	s_waitcnt lgkmcnt(0)
	s_barrier
	ds_read_b128 v[168:171], v200 offset:3456
	ds_read_b128 v[172:175], v200 offset:10368
	;; [unrolled: 1-line block ×3, first 2 shown]
	s_waitcnt lgkmcnt(1)
	v_add_f64 v[184:185], v[168:169], v[172:173]
	s_waitcnt lgkmcnt(0)
	v_add_f64 v[180:181], v[172:173], v[176:177]
	v_fmac_f64_e32 v[168:169], -0.5, v[180:181]
	v_add_f64 v[180:181], v[174:175], -v[178:179]
	v_add_f64 v[190:191], v[170:171], v[174:175]
	v_add_f64 v[174:175], v[174:175], v[178:179]
	v_fmac_f64_e32 v[170:171], -0.5, v[174:175]
	v_add_f64 v[172:173], v[172:173], -v[176:177]
	v_fma_f64 v[188:189], s[2:3], v[172:173], v[170:171]
	v_fmac_f64_e32 v[170:171], s[6:7], v[172:173]
	v_fma_f64 v[186:187], s[6:7], v[180:181], v[168:169]
	v_fmac_f64_e32 v[168:169], s[2:3], v[180:181]
	v_mul_f64 v[208:209], v[170:171], s[6:7]
	v_mul_f64 v[210:211], v[170:171], -0.5
	v_fmac_f64_e32 v[208:209], -0.5, v[168:169]
	v_fmac_f64_e32 v[210:211], s[2:3], v[168:169]
	ds_read_b128 v[168:171], v200
	ds_read_b128 v[172:175], v200 offset:6912
	ds_read_b128 v[180:183], v200 offset:13824
	v_add_f64 v[190:191], v[190:191], v[178:179]
	v_add_f64 v[184:185], v[184:185], v[176:177]
	s_waitcnt lgkmcnt(1)
	v_add_f64 v[198:199], v[170:171], v[174:175]
	s_waitcnt lgkmcnt(0)
	v_add_f64 v[192:193], v[172:173], v[180:181]
	v_add_f64 v[194:195], v[174:175], -v[182:183]
	v_add_f64 v[174:175], v[174:175], v[182:183]
	v_add_f64 v[196:197], v[168:169], v[172:173]
	v_fmac_f64_e32 v[168:169], -0.5, v[192:193]
	v_fmac_f64_e32 v[170:171], -0.5, v[174:175]
	v_add_f64 v[172:173], v[172:173], -v[180:181]
	v_fma_f64 v[192:193], s[6:7], v[194:195], v[168:169]
	v_fmac_f64_e32 v[168:169], s[2:3], v[194:195]
	v_fma_f64 v[194:195], s[2:3], v[172:173], v[170:171]
	v_fmac_f64_e32 v[170:171], s[6:7], v[172:173]
	v_add_f64 v[174:175], v[170:171], v[210:211]
	v_add_f64 v[170:171], v[170:171], -v[210:211]
	ds_read_b128 v[210:213], v200 offset:5184
	ds_read_b128 v[218:221], v200 offset:12096
	;; [unrolled: 1-line block ×3, first 2 shown]
	v_add_f64 v[172:173], v[168:169], v[208:209]
	v_add_f64 v[168:169], v[168:169], -v[208:209]
	v_add_f64 v[182:183], v[198:199], v[182:183]
	s_waitcnt lgkmcnt(1)
	v_add_f64 v[208:209], v[210:211], v[218:219]
	s_waitcnt lgkmcnt(0)
	v_add_f64 v[226:227], v[218:219], v[222:223]
	v_fmac_f64_e32 v[210:211], -0.5, v[226:227]
	v_add_f64 v[226:227], v[220:221], -v[224:225]
	v_add_f64 v[232:233], v[212:213], v[220:221]
	v_add_f64 v[220:221], v[220:221], v[224:225]
	v_fmac_f64_e32 v[212:213], -0.5, v[220:221]
	v_add_f64 v[218:219], v[218:219], -v[222:223]
	v_fma_f64 v[234:235], s[2:3], v[218:219], v[212:213]
	v_fmac_f64_e32 v[212:213], s[6:7], v[218:219]
	v_fma_f64 v[230:231], s[6:7], v[226:227], v[210:211]
	v_fmac_f64_e32 v[210:211], s[2:3], v[226:227]
	v_mul_f64 v[236:237], v[212:213], s[6:7]
	v_mul_f64 v[238:239], v[212:213], -0.5
	v_fmac_f64_e32 v[236:237], -0.5, v[210:211]
	v_fmac_f64_e32 v[238:239], s[2:3], v[210:211]
	ds_read_b128 v[210:213], v200 offset:1728
	ds_read_b128 v[218:221], v200 offset:8640
	ds_read_b128 v[226:229], v200 offset:15552
	v_add_f64 v[180:181], v[196:197], v[180:181]
	v_add_f64 v[178:179], v[182:183], v[190:191]
	v_add_f64 v[182:183], v[182:183], -v[190:191]
	s_waitcnt lgkmcnt(1)
	v_add_f64 v[240:241], v[210:211], v[218:219]
	s_waitcnt lgkmcnt(0)
	v_add_f64 v[242:243], v[218:219], v[226:227]
	v_fmac_f64_e32 v[210:211], -0.5, v[242:243]
	v_add_f64 v[242:243], v[220:221], -v[228:229]
	v_mul_f64 v[190:191], v[188:189], s[6:7]
	v_mul_f64 v[196:197], v[188:189], 0.5
	v_fma_f64 v[244:245], s[6:7], v[242:243], v[210:211]
	v_fmac_f64_e32 v[210:211], s[2:3], v[242:243]
	v_add_f64 v[242:243], v[212:213], v[220:221]
	v_add_f64 v[220:221], v[220:221], v[228:229]
	;; [unrolled: 1-line block ×3, first 2 shown]
	v_add_f64 v[180:181], v[180:181], -v[184:185]
	v_fmac_f64_e32 v[190:191], 0.5, v[186:187]
	v_fmac_f64_e32 v[196:197], s[2:3], v[186:187]
	v_fmac_f64_e32 v[212:213], -0.5, v[220:221]
	v_add_f64 v[218:219], v[218:219], -v[226:227]
	v_add_f64 v[184:185], v[192:193], v[190:191]
	v_add_f64 v[186:187], v[194:195], v[196:197]
	v_add_f64 v[188:189], v[192:193], -v[190:191]
	v_add_f64 v[190:191], v[194:195], -v[196:197]
	s_barrier
	ds_write_b128 v205, v[176:179]
	ds_write_b128 v205, v[184:187] offset:16
	ds_write_b128 v205, v[172:175] offset:32
	;; [unrolled: 1-line block ×5, first 2 shown]
	v_add_f64 v[172:173], v[240:241], v[226:227]
	v_add_f64 v[174:175], v[242:243], v[228:229]
	;; [unrolled: 1-line block ×4, first 2 shown]
	v_mul_f64 v[180:181], v[234:235], s[6:7]
	v_mul_f64 v[182:183], v[234:235], 0.5
	v_fma_f64 v[246:247], s[2:3], v[218:219], v[212:213]
	v_fmac_f64_e32 v[212:213], s[6:7], v[218:219]
	v_add_f64 v[168:169], v[172:173], v[176:177]
	v_add_f64 v[170:171], v[174:175], v[178:179]
	v_add_f64 v[172:173], v[172:173], -v[176:177]
	v_fmac_f64_e32 v[180:181], 0.5, v[230:231]
	v_fmac_f64_e32 v[182:183], s[2:3], v[230:231]
	v_add_f64 v[218:219], v[210:211], v[236:237]
	v_add_f64 v[220:221], v[212:213], v[238:239]
	v_add_f64 v[210:211], v[210:211], -v[236:237]
	v_add_f64 v[212:213], v[212:213], -v[238:239]
	;; [unrolled: 1-line block ×3, first 2 shown]
	v_add_f64 v[176:177], v[244:245], v[180:181]
	v_add_f64 v[178:179], v[246:247], v[182:183]
	v_add_f64 v[180:181], v[244:245], -v[180:181]
	v_add_f64 v[182:183], v[246:247], -v[182:183]
	ds_write_b128 v203, v[168:171]
	ds_write_b128 v203, v[176:179] offset:16
	ds_write_b128 v203, v[218:221] offset:32
	;; [unrolled: 1-line block ×5, first 2 shown]
	s_waitcnt lgkmcnt(0)
	s_barrier
	ds_read_b128 v[170:173], v200 offset:3456
	ds_read_b128 v[186:189], v200 offset:1728
	v_mov_b32_e32 v203, v206
	s_waitcnt lgkmcnt(1)
	v_mul_f64 v[168:169], v[78:79], v[172:173]
	v_mul_f64 v[78:79], v[78:79], v[170:171]
	v_fmac_f64_e32 v[168:169], v[76:77], v[170:171]
	v_fma_f64 v[78:79], v[76:77], v[172:173], -v[78:79]
	ds_read_b128 v[170:173], v200 offset:6912
	s_waitcnt lgkmcnt(0)
	v_mul_f64 v[176:177], v[74:75], v[172:173]
	v_mul_f64 v[74:75], v[74:75], v[170:171]
	v_fmac_f64_e32 v[176:177], v[72:73], v[170:171]
	v_fma_f64 v[182:183], v[72:73], v[172:173], -v[74:75]
	ds_read_b128 v[72:75], v200 offset:10368
	;; [unrolled: 6-line block ×3, first 2 shown]
	ds_read_b128 v[74:77], v200 offset:5184
	s_waitcnt lgkmcnt(1)
	v_mul_f64 v[68:69], v[66:67], v[72:73]
	v_mul_f64 v[66:67], v[66:67], v[70:71]
	v_fmac_f64_e32 v[68:69], v[64:65], v[70:71]
	v_fma_f64 v[64:65], v[64:65], v[72:73], -v[66:67]
	ds_read_b128 v[70:73], v200 offset:17280
	s_waitcnt lgkmcnt(0)
	v_mul_f64 v[66:67], v[82:83], v[72:73]
	v_fmac_f64_e32 v[66:67], v[80:81], v[70:71]
	v_mul_f64 v[70:71], v[82:83], v[70:71]
	v_fma_f64 v[70:71], v[80:81], v[72:73], -v[70:71]
	v_mul_f64 v[72:73], v[62:63], v[76:77]
	v_mul_f64 v[62:63], v[62:63], v[74:75]
	v_fmac_f64_e32 v[72:73], v[60:61], v[74:75]
	v_fma_f64 v[74:75], v[60:61], v[76:77], -v[62:63]
	ds_read_b128 v[60:63], v200 offset:8640
	s_waitcnt lgkmcnt(0)
	v_mul_f64 v[178:179], v[58:59], v[62:63]
	v_mul_f64 v[58:59], v[58:59], v[60:61]
	v_fmac_f64_e32 v[178:179], v[56:57], v[60:61]
	v_fma_f64 v[184:185], v[56:57], v[62:63], -v[58:59]
	ds_read_b128 v[56:59], v200 offset:12096
	v_add_f64 v[192:193], v[188:189], v[184:185]
	s_waitcnt lgkmcnt(0)
	v_mul_f64 v[172:173], v[54:55], v[58:59]
	v_mul_f64 v[54:55], v[54:55], v[56:57]
	v_fmac_f64_e32 v[172:173], v[52:53], v[56:57]
	v_fma_f64 v[180:181], v[52:53], v[58:59], -v[54:55]
	ds_read_b128 v[52:55], v200 offset:15552
	v_add_f64 v[196:197], v[74:75], v[180:181]
	;; [unrolled: 7-line block ×3, first 2 shown]
	s_waitcnt lgkmcnt(0)
	v_mul_f64 v[60:61], v[90:91], v[50:51]
	v_fmac_f64_e32 v[60:61], v[88:89], v[48:49]
	v_mul_f64 v[48:49], v[90:91], v[48:49]
	v_fma_f64 v[62:63], v[88:89], v[50:51], -v[48:49]
	ds_read_b128 v[48:51], v200
	s_waitcnt lgkmcnt(0)
	s_barrier
	v_add_f64 v[82:83], v[48:49], v[176:177]
	v_fmac_f64_e32 v[48:49], -0.5, v[52:53]
	v_add_f64 v[52:53], v[182:183], -v[64:65]
	v_fma_f64 v[76:77], s[6:7], v[52:53], v[48:49]
	v_fmac_f64_e32 v[48:49], s[2:3], v[52:53]
	v_add_f64 v[52:53], v[182:183], v[64:65]
	v_add_f64 v[88:89], v[50:51], v[182:183]
	v_fmac_f64_e32 v[50:51], -0.5, v[52:53]
	v_add_f64 v[52:53], v[176:177], -v[68:69]
	v_fma_f64 v[80:81], s[2:3], v[52:53], v[50:51]
	v_fmac_f64_e32 v[50:51], s[6:7], v[52:53]
	v_add_f64 v[52:53], v[170:171], v[66:67]
	;; [unrolled: 6-line block ×3, first 2 shown]
	v_add_f64 v[182:183], v[78:79], v[174:175]
	v_fmac_f64_e32 v[78:79], -0.5, v[52:53]
	v_add_f64 v[52:53], v[170:171], -v[66:67]
	v_fma_f64 v[170:171], s[2:3], v[52:53], v[78:79]
	v_fmac_f64_e32 v[78:79], s[6:7], v[52:53]
	v_mul_f64 v[174:175], v[78:79], s[6:7]
	v_mul_f64 v[78:79], v[78:79], -0.5
	v_fmac_f64_e32 v[78:79], s[2:3], v[168:169]
	v_add_f64 v[54:55], v[50:51], v[78:79]
	v_add_f64 v[50:51], v[50:51], -v[78:79]
	v_add_f64 v[78:79], v[178:179], v[56:57]
	v_fmac_f64_e32 v[174:175], -0.5, v[168:169]
	v_add_f64 v[168:169], v[186:187], v[178:179]
	v_fmac_f64_e32 v[186:187], -0.5, v[78:79]
	v_add_f64 v[78:79], v[184:185], -v[58:59]
	v_fma_f64 v[190:191], s[6:7], v[78:79], v[186:187]
	v_fmac_f64_e32 v[186:187], s[2:3], v[78:79]
	v_add_f64 v[78:79], v[184:185], v[58:59]
	v_fmac_f64_e32 v[188:189], -0.5, v[78:79]
	v_add_f64 v[78:79], v[178:179], -v[56:57]
	v_fma_f64 v[178:179], s[2:3], v[78:79], v[188:189]
	v_fmac_f64_e32 v[188:189], s[6:7], v[78:79]
	v_add_f64 v[78:79], v[172:173], v[60:61]
	v_add_f64 v[184:185], v[72:73], v[172:173]
	v_fmac_f64_e32 v[72:73], -0.5, v[78:79]
	v_add_f64 v[78:79], v[180:181], -v[62:63]
	v_fma_f64 v[194:195], s[6:7], v[78:79], v[72:73]
	v_fmac_f64_e32 v[72:73], s[2:3], v[78:79]
	v_add_f64 v[78:79], v[180:181], v[62:63]
	v_fmac_f64_e32 v[74:75], -0.5, v[78:79]
	v_add_f64 v[78:79], v[172:173], -v[60:61]
	v_fma_f64 v[180:181], s[2:3], v[78:79], v[74:75]
	v_fmac_f64_e32 v[74:75], s[6:7], v[78:79]
	v_mul_f64 v[78:79], v[74:75], s[6:7]
	v_add_f64 v[52:53], v[48:49], v[174:175]
	v_add_f64 v[48:49], v[48:49], -v[174:175]
	v_fmac_f64_e32 v[78:79], -0.5, v[72:73]
	v_mul_f64 v[174:175], v[74:75], -0.5
	v_fmac_f64_e32 v[174:175], s[2:3], v[72:73]
	v_add_f64 v[72:73], v[186:187], v[78:79]
	v_add_f64 v[172:173], v[186:187], -v[78:79]
	v_add_f64 v[68:69], v[82:83], v[68:69]
	v_add_f64 v[78:79], v[88:89], v[64:65]
	;; [unrolled: 1-line block ×6, first 2 shown]
	v_add_f64 v[68:69], v[68:69], -v[82:83]
	v_add_f64 v[70:71], v[78:79], -v[70:71]
	v_mul_f64 v[78:79], v[170:171], s[6:7]
	v_mul_f64 v[82:83], v[170:171], 0.5
	v_fmac_f64_e32 v[78:79], 0.5, v[90:91]
	v_fmac_f64_e32 v[82:83], s[2:3], v[90:91]
	v_add_f64 v[88:89], v[76:77], v[78:79]
	v_add_f64 v[90:91], v[80:81], v[82:83]
	v_add_f64 v[76:77], v[76:77], -v[78:79]
	v_add_f64 v[78:79], v[80:81], -v[82:83]
	ds_write_b128 v215, v[64:67]
	ds_write_b128 v215, v[88:91] offset:96
	ds_write_b128 v215, v[52:55] offset:192
	ds_write_b128 v215, v[68:71] offset:288
	ds_write_b128 v215, v[76:79] offset:384
	ds_write_b128 v215, v[48:51] offset:480
	v_add_f64 v[52:53], v[168:169], v[56:57]
	v_add_f64 v[56:57], v[184:185], v[60:61]
	v_mul_f64 v[60:61], v[180:181], s[6:7]
	v_add_f64 v[54:55], v[192:193], v[58:59]
	v_add_f64 v[58:59], v[196:197], v[62:63]
	v_fmac_f64_e32 v[60:61], 0.5, v[194:195]
	v_mul_f64 v[62:63], v[180:181], 0.5
	v_add_f64 v[48:49], v[52:53], v[56:57]
	v_add_f64 v[50:51], v[54:55], v[58:59]
	v_add_f64 v[52:53], v[52:53], -v[56:57]
	v_add_f64 v[54:55], v[54:55], -v[58:59]
	v_fmac_f64_e32 v[62:63], s[2:3], v[194:195]
	v_add_f64 v[56:57], v[190:191], v[60:61]
	v_add_f64 v[74:75], v[188:189], v[174:175]
	v_add_f64 v[174:175], v[188:189], -v[174:175]
	v_add_f64 v[58:59], v[178:179], v[62:63]
	v_add_f64 v[60:61], v[190:191], -v[60:61]
	v_add_f64 v[62:63], v[178:179], -v[62:63]
	ds_write_b128 v214, v[48:51]
	ds_write_b128 v214, v[56:59] offset:96
	ds_write_b128 v214, v[72:75] offset:192
	;; [unrolled: 1-line block ×5, first 2 shown]
	s_waitcnt lgkmcnt(0)
	s_barrier
	ds_read_b128 v[54:57], v200 offset:3456
	ds_read_b128 v[48:51], v200
	ds_read_b128 v[62:65], v200 offset:6912
	ds_read_b128 v[66:69], v200 offset:10368
	;; [unrolled: 1-line block ×3, first 2 shown]
	s_waitcnt lgkmcnt(4)
	v_mul_f64 v[52:53], v[106:107], v[56:57]
	v_fmac_f64_e32 v[52:53], v[104:105], v[54:55]
	v_mul_f64 v[54:55], v[106:107], v[54:55]
	v_fma_f64 v[54:55], v[104:105], v[56:57], -v[54:55]
	s_waitcnt lgkmcnt(2)
	v_mul_f64 v[60:61], v[102:103], v[64:65]
	v_mul_f64 v[56:57], v[102:103], v[62:63]
	v_fmac_f64_e32 v[60:61], v[100:101], v[62:63]
	v_fma_f64 v[74:75], v[100:101], v[64:65], -v[56:57]
	ds_read_b128 v[62:65], v200 offset:13824
	s_waitcnt lgkmcnt(2)
	v_mul_f64 v[56:57], v[98:99], v[68:69]
	v_mul_f64 v[58:59], v[98:99], v[66:67]
	v_fmac_f64_e32 v[56:57], v[96:97], v[66:67]
	v_fma_f64 v[58:59], v[96:97], v[68:69], -v[58:59]
	ds_read_b128 v[66:69], v200 offset:17280
	s_waitcnt lgkmcnt(1)
	v_mul_f64 v[76:77], v[94:95], v[64:65]
	v_fmac_f64_e32 v[76:77], v[92:93], v[62:63]
	v_mul_f64 v[62:63], v[94:95], v[62:63]
	v_fma_f64 v[78:79], v[92:93], v[64:65], -v[62:63]
	s_waitcnt lgkmcnt(0)
	v_mul_f64 v[80:81], v[86:87], v[68:69]
	v_fmac_f64_e32 v[80:81], v[84:85], v[66:67]
	v_mul_f64 v[62:63], v[86:87], v[66:67]
	ds_read_b128 v[64:67], v200 offset:8640
	v_fma_f64 v[82:83], v[84:85], v[68:69], -v[62:63]
	s_waitcnt lgkmcnt(0)
	v_mul_f64 v[86:87], v[122:123], v[66:67]
	v_fmac_f64_e32 v[86:87], v[120:121], v[64:65]
	v_mul_f64 v[64:65], v[122:123], v[64:65]
	v_fma_f64 v[88:89], v[120:121], v[66:67], -v[64:65]
	ds_read_b128 v[64:67], v200 offset:15552
	s_waitcnt lgkmcnt(0)
	v_mul_f64 v[94:95], v[110:111], v[66:67]
	v_fmac_f64_e32 v[94:95], v[108:109], v[64:65]
	v_mul_f64 v[64:65], v[110:111], v[64:65]
	v_fma_f64 v[96:97], v[108:109], v[66:67], -v[64:65]
	ds_read_b128 v[64:67], v200 offset:1728
	v_mul_f64 v[62:63], v[126:127], v[72:73]
	v_mul_f64 v[68:69], v[126:127], v[70:71]
	v_fmac_f64_e32 v[62:63], v[124:125], v[70:71]
	v_fma_f64 v[84:85], v[124:125], v[72:73], -v[68:69]
	ds_read_b128 v[68:71], v200 offset:12096
	v_add_f64 v[72:73], v[74:75], v[78:79]
	s_waitcnt lgkmcnt(0)
	v_mul_f64 v[90:91], v[118:119], v[70:71]
	v_fmac_f64_e32 v[90:91], v[116:117], v[68:69]
	v_mul_f64 v[68:69], v[118:119], v[68:69]
	v_fma_f64 v[92:93], v[116:117], v[70:71], -v[68:69]
	ds_read_b128 v[68:71], v200 offset:19008
	s_waitcnt lgkmcnt(0)
	s_barrier
	v_mul_f64 v[98:99], v[114:115], v[70:71]
	v_fmac_f64_e32 v[98:99], v[112:113], v[68:69]
	v_mul_f64 v[68:69], v[114:115], v[68:69]
	v_fma_f64 v[100:101], v[112:113], v[70:71], -v[68:69]
	v_add_f64 v[70:71], v[60:61], v[76:77]
	v_add_f64 v[68:69], v[48:49], v[60:61]
	v_fmac_f64_e32 v[48:49], -0.5, v[70:71]
	v_add_f64 v[70:71], v[74:75], -v[78:79]
	v_fma_f64 v[102:103], s[6:7], v[70:71], v[48:49]
	v_fmac_f64_e32 v[48:49], s[2:3], v[70:71]
	v_add_f64 v[70:71], v[50:51], v[74:75]
	v_fmac_f64_e32 v[50:51], -0.5, v[72:73]
	v_add_f64 v[60:61], v[60:61], -v[76:77]
	v_add_f64 v[72:73], v[56:57], v[80:81]
	v_add_f64 v[70:71], v[70:71], v[78:79]
	v_fma_f64 v[78:79], s[2:3], v[60:61], v[50:51]
	v_fmac_f64_e32 v[50:51], s[6:7], v[60:61]
	v_add_f64 v[60:61], v[52:53], v[56:57]
	v_fmac_f64_e32 v[52:53], -0.5, v[72:73]
	v_add_f64 v[72:73], v[58:59], -v[82:83]
	v_fma_f64 v[74:75], s[6:7], v[72:73], v[52:53]
	v_fmac_f64_e32 v[52:53], s[2:3], v[72:73]
	v_add_f64 v[72:73], v[54:55], v[58:59]
	v_add_f64 v[58:59], v[58:59], v[82:83]
	v_fmac_f64_e32 v[54:55], -0.5, v[58:59]
	v_add_f64 v[56:57], v[56:57], -v[80:81]
	v_fma_f64 v[58:59], s[2:3], v[56:57], v[54:55]
	v_add_f64 v[68:69], v[68:69], v[76:77]
	v_add_f64 v[60:61], v[60:61], v[80:81]
	;; [unrolled: 1-line block ×3, first 2 shown]
	v_mul_f64 v[82:83], v[58:59], 0.5
	v_fmac_f64_e32 v[54:55], s[6:7], v[56:57]
	v_add_f64 v[56:57], v[68:69], v[60:61]
	v_fmac_f64_e32 v[82:83], s[2:3], v[74:75]
	v_add_f64 v[68:69], v[68:69], -v[60:61]
	v_add_f64 v[60:61], v[64:65], v[86:87]
	v_mul_f64 v[76:77], v[58:59], s[6:7]
	v_mul_f64 v[80:81], v[54:55], s[6:7]
	v_mul_f64 v[104:105], v[54:55], -0.5
	v_add_f64 v[54:55], v[78:79], v[82:83]
	v_add_f64 v[78:79], v[78:79], -v[82:83]
	v_add_f64 v[82:83], v[60:61], v[94:95]
	v_add_f64 v[60:61], v[86:87], v[94:95]
	v_fmac_f64_e32 v[76:77], 0.5, v[74:75]
	v_fmac_f64_e32 v[64:65], -0.5, v[60:61]
	v_add_f64 v[60:61], v[88:89], -v[96:97]
	v_fmac_f64_e32 v[80:81], -0.5, v[52:53]
	v_fmac_f64_e32 v[104:105], s[2:3], v[52:53]
	v_add_f64 v[52:53], v[102:103], v[76:77]
	v_add_f64 v[76:77], v[102:103], -v[76:77]
	v_fma_f64 v[102:103], s[6:7], v[60:61], v[64:65]
	v_fmac_f64_e32 v[64:65], s[2:3], v[60:61]
	v_add_f64 v[60:61], v[66:67], v[88:89]
	v_add_f64 v[74:75], v[50:51], v[104:105]
	v_add_f64 v[50:51], v[50:51], -v[104:105]
	v_add_f64 v[104:105], v[60:61], v[96:97]
	v_add_f64 v[60:61], v[88:89], v[96:97]
	v_fmac_f64_e32 v[66:67], -0.5, v[60:61]
	v_add_f64 v[60:61], v[86:87], -v[94:95]
	v_fma_f64 v[94:95], s[2:3], v[60:61], v[66:67]
	v_fmac_f64_e32 v[66:67], s[6:7], v[60:61]
	v_add_f64 v[60:61], v[62:63], v[90:91]
	v_add_f64 v[86:87], v[60:61], v[98:99]
	;; [unrolled: 1-line block ×3, first 2 shown]
	v_fmac_f64_e32 v[62:63], -0.5, v[60:61]
	v_add_f64 v[60:61], v[92:93], -v[100:101]
	v_add_f64 v[58:59], v[70:71], v[72:73]
	v_add_f64 v[70:71], v[70:71], -v[72:73]
	v_add_f64 v[72:73], v[48:49], v[80:81]
	v_add_f64 v[48:49], v[48:49], -v[80:81]
	v_fma_f64 v[80:81], s[6:7], v[60:61], v[62:63]
	v_fmac_f64_e32 v[62:63], s[2:3], v[60:61]
	v_add_f64 v[60:61], v[84:85], v[92:93]
	v_add_f64 v[88:89], v[60:61], v[100:101]
	;; [unrolled: 1-line block ×3, first 2 shown]
	v_fmac_f64_e32 v[84:85], -0.5, v[60:61]
	v_add_f64 v[60:61], v[90:91], -v[98:99]
	v_fma_f64 v[90:91], s[2:3], v[60:61], v[84:85]
	v_fmac_f64_e32 v[84:85], s[6:7], v[60:61]
	v_mul_f64 v[92:93], v[90:91], s[6:7]
	v_mul_f64 v[96:97], v[84:85], s[6:7]
	v_mul_f64 v[98:99], v[90:91], 0.5
	v_mul_f64 v[100:101], v[84:85], -0.5
	v_fmac_f64_e32 v[92:93], 0.5, v[80:81]
	v_fmac_f64_e32 v[96:97], -0.5, v[62:63]
	v_fmac_f64_e32 v[98:99], s[2:3], v[80:81]
	v_fmac_f64_e32 v[100:101], s[2:3], v[62:63]
	v_add_f64 v[60:61], v[82:83], v[86:87]
	v_add_f64 v[80:81], v[102:103], v[92:93]
	;; [unrolled: 1-line block ×3, first 2 shown]
	v_add_f64 v[84:85], v[82:83], -v[86:87]
	v_add_f64 v[86:87], v[104:105], -v[88:89]
	v_add_f64 v[88:89], v[64:65], v[96:97]
	v_add_f64 v[82:83], v[94:95], v[98:99]
	;; [unrolled: 1-line block ×3, first 2 shown]
	v_add_f64 v[92:93], v[102:103], -v[92:93]
	v_add_f64 v[94:95], v[94:95], -v[98:99]
	;; [unrolled: 1-line block ×4, first 2 shown]
	ds_write_b128 v217, v[56:59]
	ds_write_b128 v217, v[52:55] offset:576
	ds_write_b128 v217, v[72:75] offset:1152
	;; [unrolled: 1-line block ×5, first 2 shown]
	ds_write_b128 v216, v[60:63]
	ds_write_b128 v216, v[80:83] offset:576
	ds_write_b128 v216, v[88:91] offset:1152
	;; [unrolled: 1-line block ×5, first 2 shown]
	s_waitcnt lgkmcnt(0)
	s_barrier
	ds_read_b128 v[52:55], v200
	ds_read_b128 v[56:59], v200 offset:3456
	ds_read_b128 v[60:63], v200 offset:6912
	;; [unrolled: 1-line block ×11, first 2 shown]
	s_waitcnt lgkmcnt(10)
	v_mul_f64 v[96:97], v[130:131], v[58:59]
	v_fmac_f64_e32 v[96:97], v[128:129], v[56:57]
	v_mul_f64 v[56:57], v[130:131], v[56:57]
	v_fma_f64 v[98:99], v[128:129], v[58:59], -v[56:57]
	s_waitcnt lgkmcnt(9)
	v_mul_f64 v[56:57], v[134:135], v[62:63]
	v_fmac_f64_e32 v[56:57], v[132:133], v[60:61]
	v_mul_f64 v[58:59], v[134:135], v[60:61]
	s_waitcnt lgkmcnt(8)
	v_mul_f64 v[60:61], v[138:139], v[66:67]
	v_fma_f64 v[58:59], v[132:133], v[62:63], -v[58:59]
	v_fmac_f64_e32 v[60:61], v[136:137], v[64:65]
	v_mul_f64 v[62:63], v[138:139], v[64:65]
	s_waitcnt lgkmcnt(7)
	v_mul_f64 v[64:65], v[142:143], v[70:71]
	v_fma_f64 v[62:63], v[136:137], v[66:67], -v[62:63]
	;; [unrolled: 5-line block ×3, first 2 shown]
	v_fmac_f64_e32 v[68:69], v[144:145], v[72:73]
	v_mul_f64 v[70:71], v[146:147], v[72:73]
	s_waitcnt lgkmcnt(4)
	v_mul_f64 v[72:73], v[150:151], v[76:77]
	v_mul_f64 v[100:101], v[150:151], v[78:79]
	v_fma_f64 v[102:103], v[148:149], v[78:79], -v[72:73]
	s_waitcnt lgkmcnt(3)
	v_mul_f64 v[72:73], v[154:155], v[80:81]
	v_fmac_f64_e32 v[100:101], v[148:149], v[76:77]
	v_mul_f64 v[76:77], v[154:155], v[82:83]
	v_fma_f64 v[78:79], v[152:153], v[82:83], -v[72:73]
	s_waitcnt lgkmcnt(2)
	v_mul_f64 v[72:73], v[158:159], v[84:85]
	v_fmac_f64_e32 v[76:77], v[152:153], v[80:81]
	v_mul_f64 v[80:81], v[158:159], v[86:87]
	v_fma_f64 v[82:83], v[156:157], v[86:87], -v[72:73]
	s_waitcnt lgkmcnt(1)
	v_mul_f64 v[72:73], v[162:163], v[88:89]
	v_fma_f64 v[70:71], v[144:145], v[74:75], -v[70:71]
	v_fmac_f64_e32 v[80:81], v[156:157], v[84:85]
	v_mul_f64 v[84:85], v[162:163], v[90:91]
	v_fma_f64 v[86:87], v[160:161], v[90:91], -v[72:73]
	s_waitcnt lgkmcnt(0)
	v_mul_f64 v[72:73], v[166:167], v[92:93]
	v_add_f64 v[74:75], v[56:57], v[64:65]
	v_fmac_f64_e32 v[84:85], v[160:161], v[88:89]
	v_mul_f64 v[88:89], v[166:167], v[94:95]
	v_fma_f64 v[90:91], v[164:165], v[94:95], -v[72:73]
	v_add_f64 v[72:73], v[52:53], v[56:57]
	v_fmac_f64_e32 v[52:53], -0.5, v[74:75]
	v_add_f64 v[74:75], v[58:59], -v[66:67]
	v_fmac_f64_e32 v[88:89], v[164:165], v[92:93]
	v_fma_f64 v[92:93], s[6:7], v[74:75], v[52:53]
	v_fmac_f64_e32 v[52:53], s[2:3], v[74:75]
	v_add_f64 v[74:75], v[54:55], v[58:59]
	v_add_f64 v[58:59], v[58:59], v[66:67]
	v_fmac_f64_e32 v[54:55], -0.5, v[58:59]
	v_add_f64 v[56:57], v[56:57], -v[64:65]
	v_fma_f64 v[94:95], s[2:3], v[56:57], v[54:55]
	v_fmac_f64_e32 v[54:55], s[6:7], v[56:57]
	v_add_f64 v[56:57], v[96:97], v[60:61]
	v_add_f64 v[104:105], v[56:57], v[68:69]
	;; [unrolled: 1-line block ×3, first 2 shown]
	v_fmac_f64_e32 v[96:97], -0.5, v[56:57]
	v_add_f64 v[56:57], v[62:63], -v[70:71]
	v_add_f64 v[74:75], v[74:75], v[66:67]
	v_fma_f64 v[66:67], s[6:7], v[56:57], v[96:97]
	v_fmac_f64_e32 v[96:97], s[2:3], v[56:57]
	v_add_f64 v[56:57], v[98:99], v[62:63]
	v_add_f64 v[106:107], v[56:57], v[70:71]
	;; [unrolled: 1-line block ×3, first 2 shown]
	v_fmac_f64_e32 v[98:99], -0.5, v[56:57]
	v_add_f64 v[56:57], v[60:61], -v[68:69]
	v_fma_f64 v[62:63], s[2:3], v[56:57], v[98:99]
	v_mul_f64 v[70:71], v[62:63], s[6:7]
	v_mul_f64 v[110:111], v[62:63], 0.5
	v_add_f64 v[72:73], v[72:73], v[64:65]
	v_fmac_f64_e32 v[70:71], 0.5, v[66:67]
	v_fmac_f64_e32 v[110:111], s[2:3], v[66:67]
	v_fmac_f64_e32 v[98:99], s[6:7], v[56:57]
	v_add_f64 v[56:57], v[72:73], v[104:105]
	v_add_f64 v[60:61], v[92:93], v[70:71]
	;; [unrolled: 1-line block ×4, first 2 shown]
	v_add_f64 v[68:69], v[72:73], -v[104:105]
	v_add_f64 v[72:73], v[92:93], -v[70:71]
	;; [unrolled: 1-line block ×4, first 2 shown]
	v_add_f64 v[94:95], v[76:77], v[84:85]
	v_mul_f64 v[108:109], v[98:99], s[6:7]
	v_mul_f64 v[98:99], v[98:99], -0.5
	v_add_f64 v[92:93], v[48:49], v[76:77]
	v_fmac_f64_e32 v[48:49], -0.5, v[94:95]
	v_add_f64 v[94:95], v[78:79], -v[86:87]
	v_fmac_f64_e32 v[108:109], -0.5, v[96:97]
	v_fmac_f64_e32 v[98:99], s[2:3], v[96:97]
	v_fma_f64 v[96:97], s[6:7], v[94:95], v[48:49]
	v_fmac_f64_e32 v[48:49], s[2:3], v[94:95]
	v_add_f64 v[94:95], v[50:51], v[78:79]
	v_add_f64 v[78:79], v[78:79], v[86:87]
	v_fmac_f64_e32 v[50:51], -0.5, v[78:79]
	v_add_f64 v[76:77], v[76:77], -v[84:85]
	v_add_f64 v[66:67], v[54:55], v[98:99]
	v_add_f64 v[54:55], v[54:55], -v[98:99]
	v_fma_f64 v[98:99], s[2:3], v[76:77], v[50:51]
	v_fmac_f64_e32 v[50:51], s[6:7], v[76:77]
	v_add_f64 v[76:77], v[100:101], v[80:81]
	v_add_f64 v[104:105], v[76:77], v[88:89]
	;; [unrolled: 1-line block ×3, first 2 shown]
	v_fmac_f64_e32 v[100:101], -0.5, v[76:77]
	v_add_f64 v[76:77], v[82:83], -v[90:91]
	v_add_f64 v[94:95], v[94:95], v[86:87]
	v_fma_f64 v[86:87], s[6:7], v[76:77], v[100:101]
	v_fmac_f64_e32 v[100:101], s[2:3], v[76:77]
	v_add_f64 v[76:77], v[102:103], v[82:83]
	v_add_f64 v[106:107], v[76:77], v[90:91]
	;; [unrolled: 1-line block ×3, first 2 shown]
	v_fmac_f64_e32 v[102:103], -0.5, v[76:77]
	v_add_f64 v[76:77], v[80:81], -v[88:89]
	v_fma_f64 v[82:83], s[2:3], v[76:77], v[102:103]
	v_fmac_f64_e32 v[102:103], s[6:7], v[76:77]
	v_add_f64 v[64:65], v[52:53], v[108:109]
	v_add_f64 v[52:53], v[52:53], -v[108:109]
	v_mul_f64 v[108:109], v[102:103], s[6:7]
	v_mul_f64 v[102:103], v[102:103], -0.5
	v_mul_f64 v[90:91], v[82:83], s[6:7]
	v_fmac_f64_e32 v[108:109], -0.5, v[100:101]
	v_mul_f64 v[110:111], v[82:83], 0.5
	v_fmac_f64_e32 v[102:103], s[2:3], v[100:101]
	v_add_f64 v[92:93], v[92:93], v[84:85]
	v_fmac_f64_e32 v[90:91], 0.5, v[86:87]
	v_add_f64 v[84:85], v[48:49], v[108:109]
	v_fmac_f64_e32 v[110:111], s[2:3], v[86:87]
	v_add_f64 v[86:87], v[50:51], v[102:103]
	v_add_f64 v[48:49], v[48:49], -v[108:109]
	v_add_f64 v[50:51], v[50:51], -v[102:103]
	v_add_f64 v[76:77], v[92:93], v[104:105]
	v_add_f64 v[80:81], v[96:97], v[90:91]
	;; [unrolled: 1-line block ×4, first 2 shown]
	v_add_f64 v[88:89], v[92:93], -v[104:105]
	v_add_f64 v[92:93], v[96:97], -v[90:91]
	;; [unrolled: 1-line block ×4, first 2 shown]
	ds_write_b128 v200, v[56:59]
	ds_write_b128 v200, v[60:63] offset:3456
	ds_write_b128 v200, v[64:67] offset:6912
	;; [unrolled: 1-line block ×11, first 2 shown]
	s_waitcnt lgkmcnt(0)
	s_barrier
	ds_read_b128 v[48:51], v200
	v_mov_b32_e32 v56, s0
	v_mov_b32_e32 v57, s1
	s_mov_b32 s0, 0xfcd6e9e0
	s_mov_b32 s1, 0x3f4948b0
	s_waitcnt lgkmcnt(0)
	v_mul_f64 v[52:53], v[26:27], v[50:51]
	v_mul_f64 v[26:27], v[26:27], v[48:49]
	v_fmac_f64_e32 v[52:53], v[24:25], v[48:49]
	v_fma_f64 v[24:25], v[24:25], v[50:51], -v[26:27]
	v_mad_u64_u32 v[48:49], s[2:3], s4, v204, 0
	v_mul_f64 v[54:55], v[24:25], s[0:1]
	v_mov_b32_e32 v24, v49
	v_mad_u64_u32 v[50:51], s[2:3], s5, v204, v[24:25]
	ds_read_b128 v[24:27], v200 offset:3456
	v_mov_b32_e32 v49, v50
	v_lshl_add_u64 v[50:51], v[202:203], 4, v[56:57]
	v_lshl_add_u64 v[56:57], v[48:49], 4, v[50:51]
	v_mul_f64 v[52:53], v[52:53], s[0:1]
	s_waitcnt lgkmcnt(0)
	v_mul_f64 v[48:49], v[30:31], v[26:27]
	v_fmac_f64_e32 v[48:49], v[28:29], v[24:25]
	v_mul_f64 v[24:25], v[30:31], v[24:25]
	v_fma_f64 v[24:25], v[28:29], v[26:27], -v[24:25]
	v_mul_f64 v[50:51], v[24:25], s[0:1]
	ds_read_b128 v[24:27], v200 offset:6912
	global_store_dwordx4 v[56:57], v[52:55], off
	v_mul_f64 v[48:49], v[48:49], s[0:1]
	s_waitcnt lgkmcnt(0)
	v_mul_f64 v[28:29], v[34:35], v[26:27]
	v_fmac_f64_e32 v[28:29], v[32:33], v[24:25]
	v_mul_f64 v[24:25], v[34:35], v[24:25]
	v_fma_f64 v[24:25], v[32:33], v[26:27], -v[24:25]
	v_mad_u64_u32 v[52:53], s[2:3], s4, v201, v[56:57]
	v_mul_f64 v[30:31], v[24:25], s[0:1]
	ds_read_b128 v[24:27], v200 offset:10368
	s_mul_i32 s2, s5, 0xd80
	v_add_u32_e32 v53, s2, v53
	v_mad_u64_u32 v[32:33], s[6:7], s4, v201, v[52:53]
	v_mul_f64 v[28:29], v[28:29], s[0:1]
	v_add_u32_e32 v33, s2, v33
	global_store_dwordx4 v[52:53], v[48:51], off
	global_store_dwordx4 v[32:33], v[28:31], off
	s_mul_i32 s3, s5, 0xffffc340
	s_sub_i32 s3, s3, s4
	s_waitcnt lgkmcnt(0)
	v_mul_f64 v[28:29], v[38:39], v[26:27]
	v_fmac_f64_e32 v[28:29], v[36:37], v[24:25]
	v_mul_f64 v[24:25], v[38:39], v[24:25]
	v_fma_f64 v[24:25], v[36:37], v[26:27], -v[24:25]
	v_mul_f64 v[30:31], v[24:25], s[0:1]
	ds_read_b128 v[24:27], v200 offset:13824
	v_mad_u64_u32 v[38:39], s[6:7], s4, v201, v[32:33]
	v_mul_f64 v[28:29], v[28:29], s[0:1]
	v_add_u32_e32 v39, s2, v39
	global_store_dwordx4 v[38:39], v[28:31], off
	ds_read_b128 v[34:37], v200 offset:17280
	s_waitcnt lgkmcnt(1)
	v_mul_f64 v[28:29], v[42:43], v[26:27]
	v_fmac_f64_e32 v[28:29], v[40:41], v[24:25]
	v_mul_f64 v[24:25], v[42:43], v[24:25]
	v_mul_f64 v[30:31], v[28:29], s[0:1]
	v_fma_f64 v[24:25], v[40:41], v[26:27], -v[24:25]
	v_mad_u64_u32 v[28:29], s[6:7], s4, v201, v[38:39]
	v_mul_f64 v[32:33], v[24:25], s[0:1]
	v_add_u32_e32 v29, s2, v29
	global_store_dwordx4 v[28:29], v[30:33], off
	ds_read_b128 v[30:33], v200 offset:1728
	s_waitcnt lgkmcnt(1)
	v_mul_f64 v[24:25], v[46:47], v[36:37]
	v_mul_f64 v[26:27], v[46:47], v[34:35]
	v_fmac_f64_e32 v[24:25], v[44:45], v[34:35]
	v_fma_f64 v[26:27], v[44:45], v[36:37], -v[26:27]
	v_mad_u64_u32 v[28:29], s[6:7], s4, v201, v[28:29]
	v_mul_f64 v[24:25], v[24:25], s[0:1]
	v_mul_f64 v[26:27], v[26:27], s[0:1]
	v_add_u32_e32 v29, s2, v29
	global_store_dwordx4 v[28:29], v[24:27], off
	v_mad_u64_u32 v[28:29], s[6:7], s4, v207, v[28:29]
	s_waitcnt lgkmcnt(0)
	v_mul_f64 v[24:25], v[22:23], v[32:33]
	v_mul_f64 v[22:23], v[22:23], v[30:31]
	v_fmac_f64_e32 v[24:25], v[20:21], v[30:31]
	v_fma_f64 v[20:21], v[20:21], v[32:33], -v[22:23]
	v_mul_f64 v[26:27], v[20:21], s[0:1]
	ds_read_b128 v[20:23], v200 offset:5184
	v_mul_f64 v[24:25], v[24:25], s[0:1]
	v_add_u32_e32 v29, s3, v29
	global_store_dwordx4 v[28:29], v[24:27], off
	v_mad_u64_u32 v[28:29], s[6:7], s4, v201, v[28:29]
	s_waitcnt lgkmcnt(0)
	v_mul_f64 v[24:25], v[18:19], v[22:23]
	v_mul_f64 v[18:19], v[18:19], v[20:21]
	v_fmac_f64_e32 v[24:25], v[16:17], v[20:21]
	v_fma_f64 v[16:17], v[16:17], v[22:23], -v[18:19]
	v_mul_f64 v[26:27], v[16:17], s[0:1]
	ds_read_b128 v[16:19], v200 offset:8640
	v_mul_f64 v[24:25], v[24:25], s[0:1]
	v_add_u32_e32 v29, s2, v29
	global_store_dwordx4 v[28:29], v[24:27], off
	s_waitcnt lgkmcnt(0)
	v_mul_f64 v[20:21], v[14:15], v[18:19]
	v_mul_f64 v[14:15], v[14:15], v[16:17]
	v_fmac_f64_e32 v[20:21], v[12:13], v[16:17]
	v_fma_f64 v[12:13], v[12:13], v[18:19], -v[14:15]
	v_mul_f64 v[22:23], v[12:13], s[0:1]
	ds_read_b128 v[12:15], v200 offset:12096
	v_mad_u64_u32 v[24:25], s[6:7], s4, v201, v[28:29]
	v_mul_f64 v[20:21], v[20:21], s[0:1]
	v_add_u32_e32 v25, s2, v25
	s_waitcnt lgkmcnt(0)
	v_mul_f64 v[16:17], v[10:11], v[14:15]
	v_mul_f64 v[10:11], v[10:11], v[12:13]
	v_fmac_f64_e32 v[16:17], v[8:9], v[12:13]
	v_fma_f64 v[8:9], v[8:9], v[14:15], -v[10:11]
	v_mul_f64 v[18:19], v[8:9], s[0:1]
	ds_read_b128 v[8:11], v200 offset:15552
	global_store_dwordx4 v[24:25], v[20:23], off
	v_mul_f64 v[16:17], v[16:17], s[0:1]
	s_waitcnt lgkmcnt(0)
	v_mul_f64 v[12:13], v[6:7], v[10:11]
	v_mul_f64 v[6:7], v[6:7], v[8:9]
	v_fmac_f64_e32 v[12:13], v[4:5], v[8:9]
	v_fma_f64 v[4:5], v[4:5], v[10:11], -v[6:7]
	v_mul_f64 v[14:15], v[4:5], s[0:1]
	ds_read_b128 v[4:7], v200 offset:19008
	v_mad_u64_u32 v[20:21], s[6:7], s4, v201, v[24:25]
	v_add_u32_e32 v21, s2, v21
	global_store_dwordx4 v[20:21], v[16:19], off
	s_waitcnt lgkmcnt(0)
	v_mul_f64 v[8:9], v[2:3], v[6:7]
	v_mul_f64 v[2:3], v[2:3], v[4:5]
	v_mad_u64_u32 v[16:17], s[6:7], s4, v201, v[20:21]
	v_add_u32_e32 v17, s2, v17
	v_fmac_f64_e32 v[8:9], v[0:1], v[4:5]
	v_fma_f64 v[0:1], v[0:1], v[6:7], -v[2:3]
	v_mul_f64 v[12:13], v[12:13], s[0:1]
	v_mul_f64 v[8:9], v[8:9], s[0:1]
	;; [unrolled: 1-line block ×3, first 2 shown]
	v_mad_u64_u32 v[0:1], s[0:1], s4, v201, v[16:17]
	v_add_u32_e32 v1, s2, v1
	global_store_dwordx4 v[16:17], v[12:15], off
	global_store_dwordx4 v[0:1], v[8:11], off
.LBB0_2:
	s_endpgm
	.section	.rodata,"a",@progbits
	.p2align	6, 0x0
	.amdhsa_kernel bluestein_single_fwd_len1296_dim1_dp_op_CI_CI
		.amdhsa_group_segment_fixed_size 20736
		.amdhsa_private_segment_fixed_size 0
		.amdhsa_kernarg_size 104
		.amdhsa_user_sgpr_count 2
		.amdhsa_user_sgpr_dispatch_ptr 0
		.amdhsa_user_sgpr_queue_ptr 0
		.amdhsa_user_sgpr_kernarg_segment_ptr 1
		.amdhsa_user_sgpr_dispatch_id 0
		.amdhsa_user_sgpr_kernarg_preload_length 0
		.amdhsa_user_sgpr_kernarg_preload_offset 0
		.amdhsa_user_sgpr_private_segment_size 0
		.amdhsa_uses_dynamic_stack 0
		.amdhsa_enable_private_segment 0
		.amdhsa_system_sgpr_workgroup_id_x 1
		.amdhsa_system_sgpr_workgroup_id_y 0
		.amdhsa_system_sgpr_workgroup_id_z 0
		.amdhsa_system_sgpr_workgroup_info 0
		.amdhsa_system_vgpr_workitem_id 0
		.amdhsa_next_free_vgpr 250
		.amdhsa_next_free_sgpr 20
		.amdhsa_accum_offset 252
		.amdhsa_reserve_vcc 1
		.amdhsa_float_round_mode_32 0
		.amdhsa_float_round_mode_16_64 0
		.amdhsa_float_denorm_mode_32 3
		.amdhsa_float_denorm_mode_16_64 3
		.amdhsa_dx10_clamp 1
		.amdhsa_ieee_mode 1
		.amdhsa_fp16_overflow 0
		.amdhsa_tg_split 0
		.amdhsa_exception_fp_ieee_invalid_op 0
		.amdhsa_exception_fp_denorm_src 0
		.amdhsa_exception_fp_ieee_div_zero 0
		.amdhsa_exception_fp_ieee_overflow 0
		.amdhsa_exception_fp_ieee_underflow 0
		.amdhsa_exception_fp_ieee_inexact 0
		.amdhsa_exception_int_div_zero 0
	.end_amdhsa_kernel
	.text
.Lfunc_end0:
	.size	bluestein_single_fwd_len1296_dim1_dp_op_CI_CI, .Lfunc_end0-bluestein_single_fwd_len1296_dim1_dp_op_CI_CI
                                        ; -- End function
	.section	.AMDGPU.csdata,"",@progbits
; Kernel info:
; codeLenInByte = 12432
; NumSgprs: 26
; NumVgprs: 250
; NumAgprs: 0
; TotalNumVgprs: 250
; ScratchSize: 0
; MemoryBound: 0
; FloatMode: 240
; IeeeMode: 1
; LDSByteSize: 20736 bytes/workgroup (compile time only)
; SGPRBlocks: 3
; VGPRBlocks: 31
; NumSGPRsForWavesPerEU: 26
; NumVGPRsForWavesPerEU: 250
; AccumOffset: 252
; Occupancy: 2
; WaveLimiterHint : 1
; COMPUTE_PGM_RSRC2:SCRATCH_EN: 0
; COMPUTE_PGM_RSRC2:USER_SGPR: 2
; COMPUTE_PGM_RSRC2:TRAP_HANDLER: 0
; COMPUTE_PGM_RSRC2:TGID_X_EN: 1
; COMPUTE_PGM_RSRC2:TGID_Y_EN: 0
; COMPUTE_PGM_RSRC2:TGID_Z_EN: 0
; COMPUTE_PGM_RSRC2:TIDIG_COMP_CNT: 0
; COMPUTE_PGM_RSRC3_GFX90A:ACCUM_OFFSET: 62
; COMPUTE_PGM_RSRC3_GFX90A:TG_SPLIT: 0
	.text
	.p2alignl 6, 3212836864
	.fill 256, 4, 3212836864
	.type	__hip_cuid_6d4b28a5d3851abb,@object ; @__hip_cuid_6d4b28a5d3851abb
	.section	.bss,"aw",@nobits
	.globl	__hip_cuid_6d4b28a5d3851abb
__hip_cuid_6d4b28a5d3851abb:
	.byte	0                               ; 0x0
	.size	__hip_cuid_6d4b28a5d3851abb, 1

	.ident	"AMD clang version 19.0.0git (https://github.com/RadeonOpenCompute/llvm-project roc-6.4.0 25133 c7fe45cf4b819c5991fe208aaa96edf142730f1d)"
	.section	".note.GNU-stack","",@progbits
	.addrsig
	.addrsig_sym __hip_cuid_6d4b28a5d3851abb
	.amdgpu_metadata
---
amdhsa.kernels:
  - .agpr_count:     0
    .args:
      - .actual_access:  read_only
        .address_space:  global
        .offset:         0
        .size:           8
        .value_kind:     global_buffer
      - .actual_access:  read_only
        .address_space:  global
        .offset:         8
        .size:           8
        .value_kind:     global_buffer
      - .actual_access:  read_only
        .address_space:  global
        .offset:         16
        .size:           8
        .value_kind:     global_buffer
      - .actual_access:  read_only
        .address_space:  global
        .offset:         24
        .size:           8
        .value_kind:     global_buffer
      - .actual_access:  read_only
        .address_space:  global
        .offset:         32
        .size:           8
        .value_kind:     global_buffer
      - .offset:         40
        .size:           8
        .value_kind:     by_value
      - .address_space:  global
        .offset:         48
        .size:           8
        .value_kind:     global_buffer
      - .address_space:  global
        .offset:         56
        .size:           8
        .value_kind:     global_buffer
      - .address_space:  global
        .offset:         64
        .size:           8
        .value_kind:     global_buffer
      - .address_space:  global
        .offset:         72
        .size:           8
        .value_kind:     global_buffer
      - .offset:         80
        .size:           4
        .value_kind:     by_value
      - .address_space:  global
        .offset:         88
        .size:           8
        .value_kind:     global_buffer
      - .address_space:  global
        .offset:         96
        .size:           8
        .value_kind:     global_buffer
    .group_segment_fixed_size: 20736
    .kernarg_segment_align: 8
    .kernarg_segment_size: 104
    .language:       OpenCL C
    .language_version:
      - 2
      - 0
    .max_flat_workgroup_size: 108
    .name:           bluestein_single_fwd_len1296_dim1_dp_op_CI_CI
    .private_segment_fixed_size: 0
    .sgpr_count:     26
    .sgpr_spill_count: 0
    .symbol:         bluestein_single_fwd_len1296_dim1_dp_op_CI_CI.kd
    .uniform_work_group_size: 1
    .uses_dynamic_stack: false
    .vgpr_count:     250
    .vgpr_spill_count: 0
    .wavefront_size: 64
amdhsa.target:   amdgcn-amd-amdhsa--gfx950
amdhsa.version:
  - 1
  - 2
...

	.end_amdgpu_metadata
